;; amdgpu-corpus repo=ROCm/rocFFT kind=compiled arch=gfx1030 opt=O3
	.text
	.amdgcn_target "amdgcn-amd-amdhsa--gfx1030"
	.amdhsa_code_object_version 6
	.protected	bluestein_single_back_len2916_dim1_dp_op_CI_CI ; -- Begin function bluestein_single_back_len2916_dim1_dp_op_CI_CI
	.globl	bluestein_single_back_len2916_dim1_dp_op_CI_CI
	.p2align	8
	.type	bluestein_single_back_len2916_dim1_dp_op_CI_CI,@function
bluestein_single_back_len2916_dim1_dp_op_CI_CI: ; @bluestein_single_back_len2916_dim1_dp_op_CI_CI
; %bb.0:
	s_load_dwordx4 s[16:19], s[4:5], 0x28
	v_mul_u32_u24_e32 v1, 0x10e, v0
	s_mov_b64 s[22:23], s[2:3]
	s_mov_b64 s[20:21], s[0:1]
	v_mov_b32_e32 v3, 0
	s_add_u32 s20, s20, s7
	v_lshrrev_b32_e32 v1, 16, v1
	s_addc_u32 s21, s21, 0
	s_mov_b32 s0, exec_lo
	v_add_nc_u32_e32 v2, s6, v1
	s_waitcnt lgkmcnt(0)
	v_cmpx_gt_u64_e64 s[16:17], v[2:3]
	s_cbranch_execz .LBB0_2
; %bb.1:
	s_clause 0x1
	s_load_dwordx4 s[0:3], s[4:5], 0x18
	s_load_dwordx4 s[8:11], s[4:5], 0x0
	v_mov_b32_e32 v4, v2
	v_mul_lo_u16 v1, 0xf3, v1
	v_sub_nc_u16 v88, v0, v1
	v_and_b32_e32 v107, 0xffff, v88
	v_lshlrev_b32_e32 v218, 4, v107
	v_add_co_u32 v109, null, 0x2d9, v107
	s_waitcnt lgkmcnt(0)
	s_load_dwordx4 s[12:15], s[0:1], 0x0
	buffer_store_dword v4, off, s[20:23], 0 ; 4-byte Folded Spill
	buffer_store_dword v5, off, s[20:23], 0 offset:4 ; 4-byte Folded Spill
	global_load_dwordx4 v[10:13], v218, s[8:9]
	v_add_co_u32 v219, s0, s8, v218
	v_add_co_ci_u32_e64 v220, null, s9, 0, s0
	s_mov_b32 s9, 0xbfebb67a
	v_mov_b32_e32 v111, v107
	s_waitcnt lgkmcnt(0)
	v_mad_u64_u32 v[0:1], null, s14, v2, 0
	v_mad_u64_u32 v[2:3], null, s12, v107, 0
	s_mul_i32 s1, s13, 0x1e60
	s_mul_hi_u32 s6, s12, 0x1e60
	s_mul_i32 s0, s12, 0x1e60
	s_add_i32 s1, s6, s1
	s_mul_i32 s6, s13, 0xffff7750
	s_sub_i32 s6, s6, s12
	v_mad_u64_u32 v[4:5], null, s15, v4, v[1:2]
	v_mad_u64_u32 v[5:6], null, s13, v107, v[3:4]
	v_mov_b32_e32 v1, v4
	v_lshlrev_b64 v[0:1], 4, v[0:1]
	v_mov_b32_e32 v3, v5
	v_add_co_u32 v0, vcc_lo, s18, v0
	v_lshlrev_b64 v[2:3], 4, v[2:3]
	v_add_co_ci_u32_e32 v1, vcc_lo, s19, v1, vcc_lo
	v_add_co_u32 v0, vcc_lo, v0, v2
	v_add_co_ci_u32_e32 v1, vcc_lo, v1, v3, vcc_lo
	v_add_co_u32 v2, vcc_lo, 0x1800, v219
	v_add_co_ci_u32_e32 v3, vcc_lo, 0, v220, vcc_lo
	global_load_dwordx4 v[16:19], v[0:1], off
	v_add_co_u32 v0, vcc_lo, v0, s0
	v_add_co_ci_u32_e32 v1, vcc_lo, s1, v1, vcc_lo
	global_load_dwordx4 v[36:39], v[2:3], off offset:1632
	global_load_dwordx4 v[20:23], v[0:1], off
	v_add_co_u32 v2, vcc_lo, 0x3800, v219
	v_add_co_ci_u32_e32 v3, vcc_lo, 0, v220, vcc_lo
	v_add_co_u32 v0, vcc_lo, v0, s0
	v_add_co_ci_u32_e32 v1, vcc_lo, s1, v1, vcc_lo
	;; [unrolled: 2-line block ×3, first 2 shown]
	global_load_dwordx4 v[28:31], v[2:3], off offset:1216
	global_load_dwordx4 v[24:27], v[0:1], off
	v_add_co_u32 v0, vcc_lo, v0, s0
	v_add_co_ci_u32_e32 v1, vcc_lo, s1, v1, vcc_lo
	v_add_co_u32 v2, vcc_lo, 0x7800, v219
	v_add_co_ci_u32_e32 v3, vcc_lo, 0, v220, vcc_lo
	global_load_dwordx4 v[32:35], v[4:5], off offset:800
	global_load_dwordx4 v[40:43], v[0:1], off
	v_add_co_u32 v0, vcc_lo, v0, s0
	v_add_co_ci_u32_e32 v1, vcc_lo, s1, v1, vcc_lo
	global_load_dwordx4 v[68:71], v[2:3], off offset:384
	global_load_dwordx4 v[44:47], v[0:1], off
	v_add_co_u32 v2, vcc_lo, 0x9000, v219
	v_add_co_ci_u32_e32 v3, vcc_lo, 0, v220, vcc_lo
	v_add_co_u32 v0, vcc_lo, v0, s0
	v_add_co_ci_u32_e32 v1, vcc_lo, s1, v1, vcc_lo
	global_load_dwordx4 v[72:75], v[2:3], off offset:2016
	v_mad_u64_u32 v[2:3], null, 0xffff7750, s12, v[0:1]
	global_load_dwordx4 v[48:51], v[0:1], off
	v_add_co_u32 v0, vcc_lo, 0x800, v219
	v_add_co_ci_u32_e32 v1, vcc_lo, 0, v220, vcc_lo
	v_add_nc_u32_e32 v3, s6, v3
	global_load_dwordx4 v[222:225], v[0:1], off offset:1840
	global_load_dwordx4 v[52:55], v[2:3], off
	s_waitcnt vmcnt(13)
	buffer_store_dword v10, off, s[20:23], 0 offset:136 ; 4-byte Folded Spill
	buffer_store_dword v11, off, s[20:23], 0 offset:140 ; 4-byte Folded Spill
	;; [unrolled: 1-line block ×4, first 2 shown]
	s_mov_b32 s6, 0xe8584caa
	s_mov_b32 s7, 0x3febb67a
	s_mov_b32 s8, s6
	s_waitcnt vmcnt(11)
	buffer_store_dword v36, off, s[20:23], 0 offset:120 ; 4-byte Folded Spill
	buffer_store_dword v37, off, s[20:23], 0 offset:124 ; 4-byte Folded Spill
	buffer_store_dword v38, off, s[20:23], 0 offset:128 ; 4-byte Folded Spill
	buffer_store_dword v39, off, s[20:23], 0 offset:132 ; 4-byte Folded Spill
	s_waitcnt vmcnt(9)
	buffer_store_dword v28, off, s[20:23], 0 offset:104 ; 4-byte Folded Spill
	buffer_store_dword v29, off, s[20:23], 0 offset:108 ; 4-byte Folded Spill
	buffer_store_dword v30, off, s[20:23], 0 offset:112 ; 4-byte Folded Spill
	buffer_store_dword v31, off, s[20:23], 0 offset:116 ; 4-byte Folded Spill
	;; [unrolled: 5-line block ×3, first 2 shown]
	v_mul_f64 v[0:1], v[18:19], v[12:13]
	v_mul_f64 v[4:5], v[16:17], v[12:13]
	v_fma_f64 v[56:57], v[16:17], v[10:11], v[0:1]
	v_fma_f64 v[58:59], v[18:19], v[10:11], -v[4:5]
	s_waitcnt vmcnt(5)
	v_mov_b32_e32 v10, v68
	s_waitcnt vmcnt(3)
	v_mov_b32_e32 v14, v72
	v_mov_b32_e32 v11, v69
	;; [unrolled: 1-line block ×7, first 2 shown]
	buffer_store_dword v10, off, s[20:23], 0 offset:72 ; 4-byte Folded Spill
	buffer_store_dword v11, off, s[20:23], 0 offset:76 ; 4-byte Folded Spill
	;; [unrolled: 1-line block ×8, first 2 shown]
	v_mul_f64 v[6:7], v[22:23], v[38:39]
	v_mul_f64 v[8:9], v[20:21], v[38:39]
	;; [unrolled: 1-line block ×4, first 2 shown]
	v_fma_f64 v[60:61], v[20:21], v[36:37], v[6:7]
	v_mul_f64 v[6:7], v[42:43], v[34:35]
	v_fma_f64 v[62:63], v[22:23], v[36:37], -v[8:9]
	v_mul_f64 v[8:9], v[40:41], v[34:35]
	v_fma_f64 v[64:65], v[24:25], v[28:29], v[0:1]
	v_fma_f64 v[66:67], v[26:27], v[28:29], -v[4:5]
	v_fma_f64 v[68:69], v[40:41], v[32:33], v[6:7]
	v_fma_f64 v[70:71], v[42:43], v[32:33], -v[8:9]
	v_mul_f64 v[0:1], v[46:47], v[12:13]
	v_mul_f64 v[4:5], v[44:45], v[12:13]
	s_waitcnt vmcnt(2)
	v_mul_f64 v[6:7], v[50:51], v[16:17]
	v_mul_f64 v[8:9], v[48:49], v[16:17]
	v_fma_f64 v[72:73], v[44:45], v[10:11], v[0:1]
	v_fma_f64 v[74:75], v[46:47], v[10:11], -v[4:5]
	s_waitcnt vmcnt(0)
	v_mul_f64 v[0:1], v[54:55], v[224:225]
	v_fma_f64 v[48:49], v[48:49], v[14:15], v[6:7]
	v_add_co_u32 v6, vcc_lo, 0x2800, v219
	v_add_co_ci_u32_e32 v7, vcc_lo, 0, v220, vcc_lo
	v_add_co_u32 v2, vcc_lo, v2, s0
	v_add_co_ci_u32_e32 v3, vcc_lo, s1, v3, vcc_lo
	global_load_dwordx4 v[44:47], v[6:7], off offset:1424
	v_mul_f64 v[4:5], v[52:53], v[224:225]
	v_fma_f64 v[50:51], v[50:51], v[14:15], -v[8:9]
	global_load_dwordx4 v[16:19], v[2:3], off
	v_fma_f64 v[52:53], v[52:53], v[222:223], v[0:1]
	v_fma_f64 v[54:55], v[54:55], v[222:223], -v[4:5]
	s_waitcnt vmcnt(0)
	v_mul_f64 v[0:1], v[18:19], v[46:47]
	v_mul_f64 v[4:5], v[16:17], v[46:47]
	v_fma_f64 v[76:77], v[16:17], v[44:45], v[0:1]
	v_add_co_u32 v0, vcc_lo, v2, s0
	v_add_co_ci_u32_e32 v1, vcc_lo, s1, v3, vcc_lo
	v_add_co_u32 v2, vcc_lo, 0x4800, v219
	v_add_co_ci_u32_e32 v3, vcc_lo, 0, v220, vcc_lo
	v_fma_f64 v[78:79], v[18:19], v[44:45], -v[4:5]
	global_load_dwordx4 v[40:43], v[2:3], off offset:1008
	global_load_dwordx4 v[16:19], v[0:1], off
	v_add_co_u32 v0, vcc_lo, v0, s0
	v_add_co_ci_u32_e32 v1, vcc_lo, s1, v1, vcc_lo
	s_waitcnt vmcnt(0)
	v_mul_f64 v[2:3], v[18:19], v[42:43]
	v_mul_f64 v[4:5], v[16:17], v[42:43]
	v_fma_f64 v[80:81], v[16:17], v[40:41], v[2:3]
	v_add_co_u32 v2, vcc_lo, 0x6800, v219
	v_add_co_ci_u32_e32 v3, vcc_lo, 0, v220, vcc_lo
	v_fma_f64 v[82:83], v[18:19], v[40:41], -v[4:5]
	global_load_dwordx4 v[6:9], v[2:3], off offset:592
	s_waitcnt vmcnt(0)
	buffer_store_dword v6, off, s[20:23], 0 offset:40 ; 4-byte Folded Spill
	buffer_store_dword v7, off, s[20:23], 0 offset:44 ; 4-byte Folded Spill
	buffer_store_dword v8, off, s[20:23], 0 offset:48 ; 4-byte Folded Spill
	buffer_store_dword v9, off, s[20:23], 0 offset:52 ; 4-byte Folded Spill
	global_load_dwordx4 v[16:19], v[0:1], off
	v_add_co_u32 v0, vcc_lo, v0, s0
	v_add_co_ci_u32_e32 v1, vcc_lo, s1, v1, vcc_lo
	s_waitcnt vmcnt(0)
	v_mul_f64 v[2:3], v[18:19], v[8:9]
	v_mul_f64 v[4:5], v[16:17], v[8:9]
	v_fma_f64 v[84:85], v[16:17], v[6:7], v[2:3]
	v_add_co_u32 v2, vcc_lo, 0x8800, v219
	v_add_co_ci_u32_e32 v3, vcc_lo, 0, v220, vcc_lo
	v_fma_f64 v[86:87], v[18:19], v[6:7], -v[4:5]
	global_load_dwordx4 v[6:9], v[2:3], off offset:176
	s_waitcnt vmcnt(0)
	buffer_store_dword v6, off, s[20:23], 0 offset:24 ; 4-byte Folded Spill
	buffer_store_dword v7, off, s[20:23], 0 offset:28 ; 4-byte Folded Spill
	buffer_store_dword v8, off, s[20:23], 0 offset:32 ; 4-byte Folded Spill
	buffer_store_dword v9, off, s[20:23], 0 offset:36 ; 4-byte Folded Spill
	;; [unrolled: 16-line block ×3, first 2 shown]
	global_load_dwordx4 v[93:96], v[0:1], off
	ds_write_b128 v218, v[56:59]
	ds_write_b128 v218, v[60:63] offset:7776
	ds_write_b128 v218, v[64:67] offset:15552
	;; [unrolled: 1-line block ×6, first 2 shown]
	s_load_dwordx4 s[0:3], s[2:3], 0x0
	s_waitcnt vmcnt(0)
	v_mul_f64 v[0:1], v[95:96], v[6:7]
	v_mul_f64 v[2:3], v[93:94], v[6:7]
	v_fma_f64 v[93:94], v[93:94], v[4:5], v[0:1]
	v_fma_f64 v[95:96], v[95:96], v[4:5], -v[2:3]
	ds_write_b128 v218, v[76:79] offset:11664
	ds_write_b128 v218, v[80:83] offset:19440
	;; [unrolled: 1-line block ×5, first 2 shown]
	s_waitcnt lgkmcnt(0)
	s_waitcnt_vscnt null, 0x0
	s_barrier
	buffer_gl0_inv
	ds_read_b128 v[48:51], v218
	ds_read_b128 v[52:55], v218 offset:15552
	ds_read_b128 v[56:59], v218 offset:11664
	;; [unrolled: 1-line block ×5, first 2 shown]
	v_mov_b32_e32 v90, 4
	v_add_co_u32 v89, s12, 0xf3, v107
	s_waitcnt lgkmcnt(4)
	v_add_f64 v[0:1], v[48:49], v[52:53]
	v_add_f64 v[2:3], v[50:51], v[54:55]
	s_waitcnt lgkmcnt(1)
	v_add_f64 v[4:5], v[52:53], v[64:65]
	v_add_f64 v[6:7], v[54:55], v[66:67]
	v_add_f64 v[8:9], v[54:55], -v[66:67]
	v_add_f64 v[10:11], v[52:53], -v[64:65]
	s_waitcnt lgkmcnt(0)
	v_add_f64 v[36:37], v[56:57], v[68:69]
	v_add_f64 v[38:39], v[58:59], v[70:71]
	;; [unrolled: 1-line block ×4, first 2 shown]
	ds_read_b128 v[52:55], v218 offset:7776
	ds_read_b128 v[64:67], v218 offset:23328
	;; [unrolled: 1-line block ×6, first 2 shown]
	v_fma_f64 v[4:5], v[4:5], -0.5, v[48:49]
	v_fma_f64 v[6:7], v[6:7], -0.5, v[50:51]
	v_add_f64 v[36:37], v[36:37], v[60:61]
	v_add_f64 v[38:39], v[38:39], v[62:63]
	s_waitcnt lgkmcnt(0)
	s_barrier
	buffer_gl0_inv
	v_add_f64 v[12:13], v[52:53], v[64:65]
	v_add_f64 v[14:15], v[54:55], v[66:67]
	;; [unrolled: 1-line block ×5, first 2 shown]
	v_add_f64 v[22:23], v[64:65], -v[80:81]
	v_add_f64 v[26:27], v[78:79], v[74:75]
	v_add_f64 v[20:21], v[66:67], -v[82:83]
	v_add_f64 v[28:29], v[72:73], v[84:85]
	v_add_f64 v[30:31], v[74:75], v[86:87]
	v_add_f64 v[32:33], v[74:75], -v[86:87]
	v_add_f64 v[74:75], v[68:69], v[60:61]
	v_add_f64 v[68:69], v[68:69], -v[60:61]
	v_add_f64 v[34:35], v[72:73], -v[84:85]
	v_add_f64 v[72:73], v[70:71], v[62:63]
	v_add_f64 v[70:71], v[70:71], -v[62:63]
	v_add_f64 v[12:13], v[12:13], v[80:81]
	v_add_f64 v[14:15], v[14:15], v[82:83]
	;; [unrolled: 1-line block ×3, first 2 shown]
	v_fma_f64 v[16:17], v[16:17], -0.5, v[54:55]
	v_fma_f64 v[18:19], v[18:19], -0.5, v[52:53]
	v_add_f64 v[26:27], v[26:27], v[86:87]
	v_add_f64 v[60:61], v[0:1], v[12:13]
	v_add_f64 v[64:65], v[0:1], -v[12:13]
	v_add_f64 v[52:53], v[24:25], v[36:37]
	v_add_f64 v[48:49], v[24:25], -v[36:37]
	v_mul_lo_u16 v24, v88, 6
	v_fma_f64 v[12:13], v[28:29], -0.5, v[76:77]
	v_add_f64 v[54:55], v[26:27], v[38:39]
	v_add_f64 v[50:51], v[26:27], -v[38:39]
	v_fma_f64 v[26:27], v[20:21], s[6:7], v[18:19]
	v_lshlrev_b32_sdwa v221, v90, v24 dst_sel:DWORD dst_unused:UNUSED_PAD src0_sel:DWORD src1_sel:WORD_0
	v_fma_f64 v[24:25], v[22:23], s[8:9], v[16:17]
	v_fma_f64 v[18:19], v[20:21], s[8:9], v[18:19]
	;; [unrolled: 1-line block ×3, first 2 shown]
	v_add_f64 v[62:63], v[2:3], v[14:15]
	v_add_f64 v[66:67], v[2:3], -v[14:15]
	v_fma_f64 v[0:1], v[72:73], -0.5, v[58:59]
	v_fma_f64 v[14:15], v[30:31], -0.5, v[78:79]
	v_fma_f64 v[30:31], v[10:11], s[8:9], v[6:7]
	v_fma_f64 v[6:7], v[10:11], s[6:7], v[6:7]
	v_fma_f64 v[2:3], v[74:75], -0.5, v[56:57]
	ds_write_b128 v221, v[60:63]
	ds_write_b128 v221, v[64:67] offset:48
	v_mul_f64 v[28:29], v[24:25], s[6:7]
	v_mul_f64 v[10:11], v[16:17], -0.5
	v_fma_f64 v[28:29], v[26:27], 0.5, v[28:29]
	v_mul_f64 v[26:27], v[26:27], s[8:9]
	v_fma_f64 v[10:11], v[18:19], s[8:9], v[10:11]
	v_fma_f64 v[24:25], v[24:25], 0.5, v[26:27]
	v_fma_f64 v[26:27], v[8:9], s[6:7], v[4:5]
	v_fma_f64 v[4:5], v[8:9], s[8:9], v[4:5]
	v_mul_f64 v[8:9], v[18:19], -0.5
	v_add_f64 v[82:83], v[6:7], v[10:11]
	v_add_f64 v[86:87], v[6:7], -v[10:11]
	v_fma_f64 v[6:7], v[70:71], s[6:7], v[2:3]
	v_fma_f64 v[2:3], v[70:71], s[8:9], v[2:3]
	;; [unrolled: 1-line block ×3, first 2 shown]
	v_add_f64 v[74:75], v[30:31], v[24:25]
	v_add_f64 v[72:73], v[26:27], v[28:29]
	v_add_f64 v[76:77], v[26:27], -v[28:29]
	v_fma_f64 v[8:9], v[16:17], s[6:7], v[8:9]
	v_add_f64 v[78:79], v[30:31], -v[24:25]
	v_add_f64 v[80:81], v[4:5], v[8:9]
	v_add_f64 v[84:85], v[4:5], -v[8:9]
	v_fma_f64 v[4:5], v[68:69], s[8:9], v[0:1]
	v_fma_f64 v[0:1], v[68:69], s[6:7], v[0:1]
	ds_write_b128 v221, v[72:75] offset:16
	ds_write_b128 v221, v[80:83] offset:32
	;; [unrolled: 1-line block ×4, first 2 shown]
	v_and_b32_e32 v87, 0xff, v88
	v_add_co_ci_u32_e64 v72, null, 0, 0, s12
	v_mul_f64 v[8:9], v[4:5], s[6:7]
	v_fma_f64 v[8:9], v[6:7], 0.5, v[8:9]
	v_mul_f64 v[6:7], v[6:7], s[8:9]
	v_fma_f64 v[4:5], v[4:5], 0.5, v[6:7]
	v_fma_f64 v[6:7], v[32:33], s[6:7], v[12:13]
	v_add_f64 v[62:63], v[10:11], v[4:5]
	v_add_f64 v[60:61], v[6:7], v[8:9]
	v_add_f64 v[56:57], v[6:7], -v[8:9]
	v_mul_f64 v[8:9], v[2:3], -0.5
	v_fma_f64 v[6:7], v[34:35], s[6:7], v[14:15]
	v_add_f64 v[58:59], v[10:11], -v[4:5]
	v_fma_f64 v[4:5], v[32:33], s[8:9], v[12:13]
	v_fma_f64 v[8:9], v[0:1], s[6:7], v[8:9]
	v_mul_f64 v[0:1], v[0:1], -0.5
	v_add_f64 v[64:65], v[4:5], -v[8:9]
	v_fma_f64 v[0:1], v[2:3], s[8:9], v[0:1]
	v_add_f64 v[68:69], v[4:5], v[8:9]
	v_add_f64 v[70:71], v[6:7], v[0:1]
	v_add_f64 v[66:67], v[6:7], -v[0:1]
	v_mul_u32_u24_e32 v0, 6, v89
	v_mov_b32_e32 v6, 0xaaab
	v_lshlrev_b32_e32 v235, 4, v0
	v_mul_lo_u16 v0, 0xab, v87
	ds_write_b128 v235, v[52:55]
	ds_write_b128 v235, v[60:63] offset:16
	ds_write_b128 v235, v[68:71] offset:32
	v_lshrrev_b16 v103, 10, v0
	ds_write_b128 v235, v[48:51] offset:48
	ds_write_b128 v235, v[56:59] offset:64
	;; [unrolled: 1-line block ×3, first 2 shown]
	s_waitcnt lgkmcnt(0)
	s_barrier
	v_mul_lo_u16 v0, v103, 6
	buffer_gl0_inv
	v_mul_u32_u24_sdwa v6, v89, v6 dst_sel:DWORD dst_unused:UNUSED_PAD src0_sel:WORD_0 src1_sel:DWORD
	ds_read_b128 v[48:51], v218 offset:23328
	ds_read_b128 v[52:55], v218 offset:19440
	v_sub_nc_u16 v0, v88, v0
	ds_read_b128 v[56:59], v218 offset:34992
	v_lshrrev_b32_e32 v105, 18, v6
	v_and_b32_e32 v104, 0xff, v0
	v_mul_lo_u16 v6, v105, 6
	v_mad_u64_u32 v[0:1], null, 0x50, v104, s[10:11]
	v_sub_nc_u16 v106, v89, v6
	v_mul_lo_u16 v6, 0x50, v106
	s_clause 0x2
	global_load_dwordx4 v[184:187], v[0:1], off offset:32
	global_load_dwordx4 v[176:179], v[0:1], off offset:48
	global_load_dwordx4 v[196:199], v[0:1], off offset:64
	v_and_b32_e32 v6, 0xffff, v6
	v_add_co_u32 v6, s12, s10, v6
	v_add_co_ci_u32_e64 v7, null, s11, 0, s12
	s_clause 0x1
	global_load_dwordx4 v[192:195], v[6:7], off
	global_load_dwordx4 v[188:191], v[6:7], off offset:32
	s_waitcnt vmcnt(4) lgkmcnt(2)
	v_mul_f64 v[2:3], v[50:51], v[186:187]
	v_mul_f64 v[4:5], v[48:49], v[186:187]
	v_fma_f64 v[2:3], v[48:49], v[184:185], -v[2:3]
	v_fma_f64 v[4:5], v[50:51], v[184:185], v[4:5]
	ds_read_b128 v[48:51], v218 offset:38880
	s_waitcnt vmcnt(2) lgkmcnt(0)
	v_mul_f64 v[8:9], v[48:49], v[198:199]
	v_mul_f64 v[10:11], v[50:51], v[198:199]
	v_fma_f64 v[8:9], v[50:51], v[196:197], v[8:9]
	v_fma_f64 v[10:11], v[48:49], v[196:197], -v[10:11]
	ds_read_b128 v[48:51], v218 offset:27216
	ds_read_b128 v[60:63], v218 offset:31104
	s_clause 0x2
	global_load_dwordx4 v[204:207], v[6:7], off offset:16
	global_load_dwordx4 v[180:183], v[6:7], off offset:64
	;; [unrolled: 1-line block ×3, first 2 shown]
	s_waitcnt vmcnt(3) lgkmcnt(1)
	v_mul_f64 v[12:13], v[50:51], v[190:191]
	v_mul_f64 v[14:15], v[48:49], v[190:191]
	s_waitcnt lgkmcnt(0)
	v_mul_f64 v[28:29], v[62:63], v[178:179]
	v_mul_f64 v[30:31], v[60:61], v[178:179]
	v_fma_f64 v[12:13], v[48:49], v[188:189], -v[12:13]
	v_fma_f64 v[14:15], v[50:51], v[188:189], v[14:15]
	ds_read_b128 v[48:51], v218 offset:42768
	ds_read_b128 v[64:67], v218
	s_clause 0x1
	global_load_dwordx4 v[212:215], v[0:1], off
	global_load_dwordx4 v[208:211], v[0:1], off offset:16
	v_fma_f64 v[28:29], v[60:61], v[176:177], -v[28:29]
	v_fma_f64 v[30:31], v[62:63], v[176:177], v[30:31]
	s_waitcnt vmcnt(3) lgkmcnt(1)
	v_mul_f64 v[6:7], v[48:49], v[182:183]
	v_mul_f64 v[16:17], v[50:51], v[182:183]
	;; [unrolled: 1-line block ×4, first 2 shown]
	s_waitcnt vmcnt(2)
	v_mul_f64 v[36:37], v[58:59], v[202:203]
	v_mul_f64 v[38:39], v[56:57], v[202:203]
	v_fma_f64 v[6:7], v[50:51], v[180:181], v[6:7]
	v_fma_f64 v[16:17], v[48:49], v[180:181], -v[16:17]
	ds_read_b128 v[48:51], v218 offset:7776
	ds_read_b128 v[68:71], v218 offset:3888
	v_fma_f64 v[32:33], v[52:53], v[204:205], -v[32:33]
	v_fma_f64 v[36:37], v[56:57], v[200:201], -v[36:37]
	v_fma_f64 v[34:35], v[54:55], v[204:205], v[34:35]
	v_fma_f64 v[38:39], v[58:59], v[200:201], v[38:39]
	s_waitcnt vmcnt(1) lgkmcnt(1)
	v_mul_f64 v[0:1], v[50:51], v[214:215]
	v_mul_f64 v[18:19], v[48:49], v[214:215]
	v_fma_f64 v[0:1], v[48:49], v[212:213], -v[0:1]
	v_fma_f64 v[18:19], v[50:51], v[212:213], v[18:19]
	ds_read_b128 v[48:51], v218 offset:11664
	ds_read_b128 v[73:76], v218 offset:15552
	s_waitcnt vmcnt(0) lgkmcnt(0)
	s_barrier
	buffer_gl0_inv
	v_mul_f64 v[20:21], v[50:51], v[194:195]
	v_mul_f64 v[24:25], v[75:76], v[210:211]
	;; [unrolled: 1-line block ×4, first 2 shown]
	v_fma_f64 v[20:21], v[48:49], v[192:193], -v[20:21]
	v_fma_f64 v[24:25], v[73:74], v[208:209], -v[24:25]
	v_fma_f64 v[26:27], v[75:76], v[208:209], v[26:27]
	v_fma_f64 v[22:23], v[50:51], v[192:193], v[22:23]
	v_add_f64 v[48:49], v[24:25], v[28:29]
	v_add_f64 v[50:51], v[66:67], v[26:27]
	v_fma_f64 v[73:74], v[48:49], -0.5, v[64:65]
	v_add_f64 v[48:49], v[26:27], v[30:31]
	v_add_f64 v[54:55], v[50:51], v[30:31]
	v_fma_f64 v[75:76], v[48:49], -0.5, v[66:67]
	v_add_f64 v[48:49], v[64:65], v[24:25]
	v_add_f64 v[52:53], v[48:49], v[28:29]
	;; [unrolled: 1-line block ×7, first 2 shown]
	v_add_f64 v[52:53], v[52:53], -v[56:57]
	v_add_f64 v[56:57], v[32:33], v[36:37]
	v_add_f64 v[50:51], v[54:55], v[58:59]
	v_add_f64 v[54:55], v[54:55], -v[58:59]
	v_add_f64 v[58:59], v[70:71], v[34:35]
	v_fma_f64 v[85:86], v[56:57], -0.5, v[68:69]
	v_add_f64 v[56:57], v[34:35], v[38:39]
	v_add_f64 v[62:63], v[58:59], v[38:39]
	v_fma_f64 v[95:96], v[56:57], -0.5, v[70:71]
	v_add_f64 v[56:57], v[68:69], v[32:33]
	v_add_f64 v[60:61], v[56:57], v[36:37]
	;; [unrolled: 1-line block ×7, first 2 shown]
	v_add_f64 v[60:61], v[60:61], -v[64:65]
	v_add_f64 v[64:65], v[2:3], v[10:11]
	v_add_f64 v[2:3], v[2:3], -v[10:11]
	v_add_f64 v[10:11], v[4:5], v[8:9]
	v_add_f64 v[4:5], v[4:5], -v[8:9]
	v_add_f64 v[8:9], v[26:27], -v[30:31]
	v_add_f64 v[58:59], v[62:63], v[66:67]
	v_add_f64 v[62:63], v[62:63], -v[66:67]
	v_fma_f64 v[0:1], v[64:65], -0.5, v[0:1]
	v_fma_f64 v[10:11], v[10:11], -0.5, v[18:19]
	v_add_f64 v[18:19], v[24:25], -v[28:29]
	v_fma_f64 v[26:27], v[4:5], s[6:7], v[0:1]
	v_fma_f64 v[0:1], v[4:5], s[8:9], v[0:1]
	;; [unrolled: 1-line block ×6, first 2 shown]
	v_mul_f64 v[10:11], v[0:1], -0.5
	v_mul_f64 v[28:29], v[24:25], s[6:7]
	v_fma_f64 v[10:11], v[2:3], s[6:7], v[10:11]
	v_fma_f64 v[28:29], v[26:27], 0.5, v[28:29]
	v_mul_f64 v[26:27], v[26:27], s[8:9]
	v_mul_f64 v[2:3], v[2:3], -0.5
	v_add_f64 v[77:78], v[4:5], -v[10:11]
	v_fma_f64 v[24:25], v[24:25], 0.5, v[26:27]
	v_fma_f64 v[26:27], v[8:9], s[6:7], v[73:74]
	v_fma_f64 v[8:9], v[18:19], s[6:7], v[75:76]
	;; [unrolled: 1-line block ×3, first 2 shown]
	v_add_f64 v[73:74], v[4:5], v[10:11]
	v_add_f64 v[4:5], v[14:15], v[6:7]
	v_add_f64 v[2:3], v[12:13], -v[16:17]
	v_add_f64 v[6:7], v[14:15], -v[6:7]
	;; [unrolled: 1-line block ×3, first 2 shown]
	v_add_f64 v[66:67], v[30:31], v[24:25]
	v_add_f64 v[64:65], v[26:27], v[28:29]
	v_add_f64 v[68:69], v[26:27], -v[28:29]
	v_add_f64 v[75:76], v[8:9], v[0:1]
	v_add_f64 v[79:80], v[8:9], -v[0:1]
	v_add_f64 v[0:1], v[12:13], v[16:17]
	v_fma_f64 v[4:5], v[4:5], -0.5, v[22:23]
	v_add_f64 v[8:9], v[34:35], -v[38:39]
	v_fma_f64 v[18:19], v[10:11], s[8:9], v[95:96]
	v_add_f64 v[70:71], v[30:31], -v[24:25]
	v_mov_b32_e32 v24, 0xe38f
	v_fma_f64 v[0:1], v[0:1], -0.5, v[20:21]
	v_fma_f64 v[12:13], v[2:3], s[8:9], v[4:5]
	v_fma_f64 v[2:3], v[2:3], s[6:7], v[4:5]
	;; [unrolled: 1-line block ×4, first 2 shown]
	v_mul_f64 v[16:17], v[12:13], s[6:7]
	v_fma_f64 v[0:1], v[6:7], s[8:9], v[0:1]
	v_fma_f64 v[6:7], v[10:11], s[6:7], v[95:96]
	v_fma_f64 v[16:17], v[14:15], 0.5, v[16:17]
	v_mul_f64 v[14:15], v[14:15], s[8:9]
	v_fma_f64 v[12:13], v[12:13], 0.5, v[14:15]
	v_fma_f64 v[14:15], v[8:9], s[6:7], v[85:86]
	v_mul_f64 v[8:9], v[0:1], -0.5
	v_add_f64 v[83:84], v[18:19], v[12:13]
	v_add_f64 v[81:82], v[14:15], v[16:17]
	v_fma_f64 v[8:9], v[2:3], s[6:7], v[8:9]
	v_mul_f64 v[2:3], v[2:3], -0.5
	v_add_f64 v[91:92], v[14:15], -v[16:17]
	v_add_f64 v[93:94], v[18:19], -v[12:13]
	v_add_f64 v[95:96], v[4:5], v[8:9]
	v_fma_f64 v[0:1], v[0:1], s[8:9], v[2:3]
	v_add_f64 v[99:100], v[4:5], -v[8:9]
	v_mul_u32_u24_sdwa v8, v89, v24 dst_sel:DWORD dst_unused:UNUSED_PAD src0_sel:WORD_0 src1_sel:DWORD
	v_add_f64 v[97:98], v[6:7], v[0:1]
	v_add_f64 v[101:102], v[6:7], -v[0:1]
	v_mov_b32_e32 v0, 36
	v_mul_u32_u24_sdwa v0, v103, v0 dst_sel:DWORD dst_unused:UNUSED_PAD src0_sel:WORD_0 src1_sel:DWORD
	v_add_lshl_u32 v234, v0, v104, 4
	v_mad_u16 v0, v105, 36, v106
	ds_write_b128 v234, v[48:51]
	ds_write_b128 v234, v[52:55] offset:288
	ds_write_b128 v234, v[64:67] offset:96
	;; [unrolled: 1-line block ×5, first 2 shown]
	v_lshlrev_b32_sdwa v233, v90, v0 dst_sel:DWORD dst_unused:UNUSED_PAD src0_sel:DWORD src1_sel:WORD_0
	v_mul_lo_u16 v0, v87, 57
	ds_write_b128 v233, v[56:59]
	ds_write_b128 v233, v[81:84] offset:96
	ds_write_b128 v233, v[95:98] offset:192
	;; [unrolled: 1-line block ×5, first 2 shown]
	v_lshrrev_b16 v85, 11, v0
	s_waitcnt lgkmcnt(0)
	s_barrier
	buffer_gl0_inv
	v_lshrrev_b32_e32 v95, 21, v8
	v_mul_lo_u16 v0, v85, 36
	v_add_co_u32 v96, null, 0x1e6, v107
	v_mul_lo_u16 v8, v95, 36
	v_sub_nc_u16 v0, v88, v0
	v_mul_u32_u24_sdwa v16, v96, v24 dst_sel:DWORD dst_unused:UNUSED_PAD src0_sel:WORD_0 src1_sel:DWORD
	v_mul_u32_u24_sdwa v24, v109, v24 dst_sel:DWORD dst_unused:UNUSED_PAD src0_sel:WORD_0 src1_sel:DWORD
	v_sub_nc_u16 v101, v89, v8
	v_and_b32_e32 v86, 0xff, v0
	v_lshrrev_b32_e32 v102, 21, v16
	v_lshrrev_b32_e32 v104, 21, v24
	v_lshlrev_b16 v8, 5, v101
	v_lshlrev_b32_e32 v0, 5, v86
	s_clause 0x1
	global_load_dwordx4 v[148:151], v0, s[10:11] offset:480
	global_load_dwordx4 v[144:147], v0, s[10:11] offset:496
	ds_read_b128 v[48:51], v218 offset:15552
	ds_read_b128 v[52:55], v218 offset:11664
	v_and_b32_e32 v8, 0xffff, v8
	v_mul_lo_u16 v16, v102, 36
	v_mul_lo_u16 v24, v104, 36
	v_add_co_u32 v8, s12, s10, v8
	v_add_co_ci_u32_e64 v9, null, s11, 0, s12
	v_sub_nc_u16 v103, v96, v16
	v_sub_nc_u16 v110, v109, v24
	v_lshlrev_b16 v16, 5, v103
	v_lshlrev_b16 v24, 5, v110
	v_and_b32_e32 v16, 0xffff, v16
	v_and_b32_e32 v24, 0xffff, v24
	v_add_co_u32 v16, s12, s10, v16
	v_add_co_ci_u32_e64 v17, null, s11, 0, s12
	v_add_co_u32 v24, s12, s10, v24
	v_add_co_ci_u32_e64 v25, null, s11, 0, s12
	s_waitcnt vmcnt(1) lgkmcnt(1)
	v_mul_f64 v[0:1], v[50:51], v[150:151]
	v_mul_f64 v[2:3], v[48:49], v[150:151]
	v_fma_f64 v[0:1], v[48:49], v[148:149], -v[0:1]
	v_fma_f64 v[2:3], v[50:51], v[148:149], v[2:3]
	ds_read_b128 v[48:51], v218 offset:31104
	ds_read_b128 v[56:59], v218 offset:27216
	s_clause 0x1
	global_load_dwordx4 v[156:159], v[8:9], off offset:480
	global_load_dwordx4 v[152:155], v[8:9], off offset:496
	s_waitcnt vmcnt(2) lgkmcnt(1)
	v_mul_f64 v[4:5], v[50:51], v[146:147]
	v_mul_f64 v[6:7], v[48:49], v[146:147]
	v_fma_f64 v[4:5], v[48:49], v[144:145], -v[4:5]
	v_fma_f64 v[6:7], v[50:51], v[144:145], v[6:7]
	ds_read_b128 v[48:51], v218 offset:19440
	ds_read_b128 v[60:63], v218 offset:23328
	v_add_f64 v[32:33], v[0:1], v[4:5]
	v_add_f64 v[34:35], v[2:3], v[6:7]
	s_waitcnt vmcnt(1) lgkmcnt(1)
	v_mul_f64 v[8:9], v[50:51], v[158:159]
	v_mul_f64 v[10:11], v[48:49], v[158:159]
	v_fma_f64 v[8:9], v[48:49], v[156:157], -v[8:9]
	v_fma_f64 v[10:11], v[50:51], v[156:157], v[10:11]
	ds_read_b128 v[48:51], v218 offset:34992
	ds_read_b128 v[64:67], v218 offset:38880
	s_clause 0x3
	global_load_dwordx4 v[164:167], v[16:17], off offset:480
	global_load_dwordx4 v[160:163], v[16:17], off offset:496
	;; [unrolled: 1-line block ×4, first 2 shown]
	s_waitcnt vmcnt(4) lgkmcnt(1)
	v_mul_f64 v[12:13], v[50:51], v[154:155]
	v_mul_f64 v[14:15], v[48:49], v[154:155]
	v_fma_f64 v[12:13], v[48:49], v[152:153], -v[12:13]
	v_fma_f64 v[14:15], v[50:51], v[152:153], v[14:15]
	s_waitcnt vmcnt(3)
	v_mul_f64 v[18:19], v[60:61], v[166:167]
	s_waitcnt vmcnt(1)
	v_mul_f64 v[24:25], v[58:59], v[174:175]
	v_mul_f64 v[26:27], v[56:57], v[174:175]
	s_waitcnt lgkmcnt(0)
	v_mul_f64 v[20:21], v[66:67], v[162:163]
	v_mul_f64 v[22:23], v[64:65], v[162:163]
	;; [unrolled: 1-line block ×3, first 2 shown]
	v_fma_f64 v[18:19], v[62:63], v[164:165], v[18:19]
	v_fma_f64 v[24:25], v[56:57], v[172:173], -v[24:25]
	v_fma_f64 v[26:27], v[58:59], v[172:173], v[26:27]
	ds_read_b128 v[48:51], v218 offset:42768
	ds_read_b128 v[56:59], v218
	v_fma_f64 v[20:21], v[64:65], v[160:161], -v[20:21]
	v_fma_f64 v[22:23], v[66:67], v[160:161], v[22:23]
	ds_read_b128 v[64:67], v218 offset:3888
	ds_read_b128 v[68:71], v218 offset:7776
	v_fma_f64 v[16:17], v[60:61], v[164:165], -v[16:17]
	s_waitcnt vmcnt(0) lgkmcnt(0)
	s_barrier
	buffer_gl0_inv
	v_mul_f64 v[28:29], v[50:51], v[170:171]
	v_fma_f64 v[34:35], v[34:35], -0.5, v[58:59]
	v_add_f64 v[38:39], v[56:57], v[0:1]
	v_add_f64 v[0:1], v[0:1], -v[4:5]
	v_fma_f64 v[32:33], v[32:33], -0.5, v[56:57]
	v_add_f64 v[36:37], v[58:59], v[2:3]
	v_add_f64 v[2:3], v[2:3], -v[6:7]
	v_mul_f64 v[30:31], v[48:49], v[170:171]
	v_fma_f64 v[28:29], v[48:49], v[168:169], -v[28:29]
	v_add_f64 v[48:49], v[38:39], v[4:5]
	v_fma_f64 v[58:59], v[0:1], s[8:9], v[34:35]
	v_fma_f64 v[62:63], v[0:1], s[6:7], v[34:35]
	v_add_f64 v[0:1], v[8:9], v[12:13]
	v_fma_f64 v[56:57], v[2:3], s[6:7], v[32:33]
	v_fma_f64 v[60:61], v[2:3], s[8:9], v[32:33]
	v_add_f64 v[2:3], v[10:11], v[14:15]
	v_add_f64 v[4:5], v[66:67], v[10:11]
	v_add_f64 v[10:11], v[10:11], -v[14:15]
	v_fma_f64 v[30:31], v[50:51], v[168:169], v[30:31]
	v_add_f64 v[50:51], v[36:37], v[6:7]
	v_add_f64 v[6:7], v[64:65], v[8:9]
	v_fma_f64 v[0:1], v[0:1], -0.5, v[64:65]
	v_fma_f64 v[2:3], v[2:3], -0.5, v[66:67]
	v_add_f64 v[66:67], v[4:5], v[14:15]
	v_add_f64 v[4:5], v[8:9], -v[12:13]
	v_add_f64 v[8:9], v[18:19], -v[22:23]
	v_add_f64 v[64:65], v[6:7], v[12:13]
	v_add_f64 v[6:7], v[68:69], v[16:17]
	v_fma_f64 v[73:74], v[10:11], s[6:7], v[0:1]
	v_fma_f64 v[77:78], v[10:11], s[8:9], v[0:1]
	v_add_f64 v[0:1], v[16:17], v[20:21]
	v_fma_f64 v[75:76], v[4:5], s[8:9], v[2:3]
	v_fma_f64 v[79:80], v[4:5], s[6:7], v[2:3]
	v_add_f64 v[2:3], v[18:19], v[22:23]
	v_add_f64 v[4:5], v[70:71], v[18:19]
	v_fma_f64 v[0:1], v[0:1], -0.5, v[68:69]
	v_add_f64 v[68:69], v[6:7], v[20:21]
	v_add_f64 v[6:7], v[52:53], v[24:25]
	v_fma_f64 v[2:3], v[2:3], -0.5, v[70:71]
	v_add_f64 v[70:71], v[4:5], v[22:23]
	v_add_f64 v[4:5], v[16:17], -v[20:21]
	v_lshrrev_b16 v16, 2, v96
	v_fma_f64 v[81:82], v[8:9], s[6:7], v[0:1]
	v_fma_f64 v[91:92], v[8:9], s[8:9], v[0:1]
	v_add_f64 v[0:1], v[24:25], v[28:29]
	v_add_f64 v[8:9], v[26:27], -v[30:31]
	v_fma_f64 v[83:84], v[4:5], s[8:9], v[2:3]
	v_fma_f64 v[93:94], v[4:5], s[6:7], v[2:3]
	v_add_f64 v[2:3], v[26:27], v[30:31]
	v_add_f64 v[4:5], v[54:55], v[26:27]
	v_fma_f64 v[0:1], v[0:1], -0.5, v[52:53]
	v_add_f64 v[52:53], v[6:7], v[28:29]
	v_fma_f64 v[2:3], v[2:3], -0.5, v[54:55]
	v_add_f64 v[54:55], v[4:5], v[30:31]
	v_add_f64 v[4:5], v[24:25], -v[28:29]
	v_mov_b32_e32 v24, 0x4bdb
	v_lshrrev_b16 v25, 2, v109
	v_mul_u32_u24_sdwa v16, v16, v24 dst_sel:DWORD dst_unused:UNUSED_PAD src0_sel:WORD_0 src1_sel:DWORD
	v_fma_f64 v[97:98], v[8:9], s[6:7], v[0:1]
	v_fma_f64 v[105:106], v[8:9], s[8:9], v[0:1]
	v_mov_b32_e32 v0, 0x6c
	v_lshrrev_b16 v8, 2, v89
	v_mul_u32_u24_sdwa v0, v85, v0 dst_sel:DWORD dst_unused:UNUSED_PAD src0_sel:WORD_0 src1_sel:DWORD
	v_mul_u32_u24_sdwa v8, v8, v24 dst_sel:DWORD dst_unused:UNUSED_PAD src0_sel:WORD_0 src1_sel:DWORD
	v_fma_f64 v[99:100], v[4:5], s[8:9], v[2:3]
	v_fma_f64 v[107:108], v[4:5], s[6:7], v[2:3]
	v_mul_u32_u24_sdwa v24, v25, v24 dst_sel:DWORD dst_unused:UNUSED_PAD src0_sel:WORD_0 src1_sel:DWORD
	v_add_lshl_u32 v232, v0, v86, 4
	v_mad_u16 v0, 0x6c, v95, v101
	ds_write_b128 v232, v[48:51]
	ds_write_b128 v232, v[56:59] offset:576
	ds_write_b128 v232, v[60:63] offset:1152
	v_lshlrev_b32_sdwa v231, v90, v0 dst_sel:DWORD dst_unused:UNUSED_PAD src0_sel:DWORD src1_sel:WORD_0
	v_mad_u16 v0, 0x6c, v102, v103
	ds_write_b128 v231, v[64:67]
	ds_write_b128 v231, v[73:76] offset:576
	ds_write_b128 v231, v[77:80] offset:1152
	v_lshlrev_b32_sdwa v230, v90, v0 dst_sel:DWORD dst_unused:UNUSED_PAD src0_sel:DWORD src1_sel:WORD_0
	;; [unrolled: 5-line block ×3, first 2 shown]
	v_mul_lo_u16 v0, v87, 19
	ds_write_b128 v229, v[52:55]
	ds_write_b128 v229, v[97:100] offset:576
	ds_write_b128 v229, v[105:108] offset:1152
	v_lshrrev_b16 v85, 11, v0
	s_waitcnt lgkmcnt(0)
	s_barrier
	buffer_gl0_inv
	v_lshrrev_b32_e32 v87, 19, v8
	v_mul_lo_u16 v0, 0x6c, v85
	v_lshrrev_b32_e32 v101, 19, v16
	v_lshrrev_b32_e32 v103, 19, v24
	v_mul_lo_u16 v8, 0x6c, v87
	v_sub_nc_u16 v0, v88, v0
	v_mul_lo_u16 v16, 0x6c, v101
	v_mul_lo_u16 v24, 0x6c, v103
	v_sub_nc_u16 v95, v89, v8
	v_and_b32_e32 v86, 0xff, v0
	v_sub_nc_u16 v102, v96, v16
	v_sub_nc_u16 v104, v109, v24
	v_lshlrev_b16 v8, 5, v95
	v_lshlrev_b32_e32 v0, 5, v86
	s_clause 0x1
	global_load_dwordx4 v[116:119], v0, s[10:11] offset:1632
	global_load_dwordx4 v[112:115], v0, s[10:11] offset:1648
	ds_read_b128 v[48:51], v218 offset:15552
	ds_read_b128 v[52:55], v218 offset:11664
	v_and_b32_e32 v8, 0xffff, v8
	v_lshlrev_b16 v16, 5, v102
	v_lshlrev_b16 v24, 5, v104
	v_add_co_u32 v8, s12, s10, v8
	v_add_co_ci_u32_e64 v9, null, s11, 0, s12
	v_and_b32_e32 v16, 0xffff, v16
	v_and_b32_e32 v24, 0xffff, v24
	v_add_co_u32 v16, s12, s10, v16
	v_add_co_ci_u32_e64 v17, null, s11, 0, s12
	v_add_co_u32 v24, s12, s10, v24
	v_add_co_ci_u32_e64 v25, null, s11, 0, s12
	s_waitcnt vmcnt(1) lgkmcnt(1)
	v_mul_f64 v[0:1], v[50:51], v[118:119]
	v_mul_f64 v[2:3], v[48:49], v[118:119]
	v_fma_f64 v[0:1], v[48:49], v[116:117], -v[0:1]
	v_fma_f64 v[2:3], v[50:51], v[116:117], v[2:3]
	ds_read_b128 v[48:51], v218 offset:31104
	ds_read_b128 v[56:59], v218 offset:27216
	s_clause 0x1
	global_load_dwordx4 v[124:127], v[8:9], off offset:1632
	global_load_dwordx4 v[120:123], v[8:9], off offset:1648
	s_waitcnt vmcnt(2) lgkmcnt(1)
	v_mul_f64 v[4:5], v[50:51], v[114:115]
	v_mul_f64 v[6:7], v[48:49], v[114:115]
	v_fma_f64 v[4:5], v[48:49], v[112:113], -v[4:5]
	v_fma_f64 v[6:7], v[50:51], v[112:113], v[6:7]
	ds_read_b128 v[48:51], v218 offset:19440
	ds_read_b128 v[60:63], v218 offset:23328
	v_add_f64 v[32:33], v[0:1], v[4:5]
	v_add_f64 v[34:35], v[2:3], v[6:7]
	s_waitcnt vmcnt(1) lgkmcnt(1)
	v_mul_f64 v[8:9], v[50:51], v[126:127]
	v_mul_f64 v[10:11], v[48:49], v[126:127]
	v_fma_f64 v[8:9], v[48:49], v[124:125], -v[8:9]
	v_fma_f64 v[10:11], v[50:51], v[124:125], v[10:11]
	ds_read_b128 v[48:51], v218 offset:34992
	ds_read_b128 v[64:67], v218 offset:38880
	s_clause 0x3
	global_load_dwordx4 v[132:135], v[16:17], off offset:1632
	global_load_dwordx4 v[128:131], v[16:17], off offset:1648
	;; [unrolled: 1-line block ×4, first 2 shown]
	s_waitcnt vmcnt(4) lgkmcnt(1)
	v_mul_f64 v[12:13], v[50:51], v[122:123]
	v_mul_f64 v[14:15], v[48:49], v[122:123]
	v_fma_f64 v[12:13], v[48:49], v[120:121], -v[12:13]
	v_fma_f64 v[14:15], v[50:51], v[120:121], v[14:15]
	s_waitcnt vmcnt(3)
	v_mul_f64 v[18:19], v[60:61], v[134:135]
	s_waitcnt vmcnt(1)
	v_mul_f64 v[24:25], v[58:59], v[142:143]
	v_mul_f64 v[26:27], v[56:57], v[142:143]
	s_waitcnt lgkmcnt(0)
	v_mul_f64 v[20:21], v[66:67], v[130:131]
	v_mul_f64 v[22:23], v[64:65], v[130:131]
	;; [unrolled: 1-line block ×3, first 2 shown]
	v_fma_f64 v[18:19], v[62:63], v[132:133], v[18:19]
	v_fma_f64 v[24:25], v[56:57], v[140:141], -v[24:25]
	v_fma_f64 v[26:27], v[58:59], v[140:141], v[26:27]
	ds_read_b128 v[48:51], v218 offset:42768
	ds_read_b128 v[56:59], v218
	v_fma_f64 v[20:21], v[64:65], v[128:129], -v[20:21]
	v_fma_f64 v[22:23], v[66:67], v[128:129], v[22:23]
	ds_read_b128 v[64:67], v218 offset:3888
	ds_read_b128 v[68:71], v218 offset:7776
	v_fma_f64 v[16:17], v[60:61], v[132:133], -v[16:17]
	s_waitcnt vmcnt(0) lgkmcnt(0)
	s_barrier
	buffer_gl0_inv
	v_mul_f64 v[28:29], v[50:51], v[138:139]
	v_fma_f64 v[34:35], v[34:35], -0.5, v[58:59]
	v_add_f64 v[38:39], v[56:57], v[0:1]
	v_add_f64 v[0:1], v[0:1], -v[4:5]
	v_fma_f64 v[32:33], v[32:33], -0.5, v[56:57]
	v_add_f64 v[36:37], v[58:59], v[2:3]
	v_add_f64 v[2:3], v[2:3], -v[6:7]
	v_mul_f64 v[30:31], v[48:49], v[138:139]
	v_fma_f64 v[28:29], v[48:49], v[136:137], -v[28:29]
	v_add_f64 v[48:49], v[38:39], v[4:5]
	v_fma_f64 v[58:59], v[0:1], s[8:9], v[34:35]
	v_fma_f64 v[62:63], v[0:1], s[6:7], v[34:35]
	v_add_f64 v[0:1], v[8:9], v[12:13]
	v_fma_f64 v[56:57], v[2:3], s[6:7], v[32:33]
	v_fma_f64 v[60:61], v[2:3], s[8:9], v[32:33]
	v_add_f64 v[2:3], v[10:11], v[14:15]
	v_add_f64 v[4:5], v[66:67], v[10:11]
	v_add_f64 v[10:11], v[10:11], -v[14:15]
	v_fma_f64 v[30:31], v[50:51], v[136:137], v[30:31]
	v_add_f64 v[50:51], v[36:37], v[6:7]
	v_add_f64 v[6:7], v[64:65], v[8:9]
	v_fma_f64 v[0:1], v[0:1], -0.5, v[64:65]
	v_fma_f64 v[2:3], v[2:3], -0.5, v[66:67]
	v_add_f64 v[66:67], v[4:5], v[14:15]
	v_add_f64 v[4:5], v[8:9], -v[12:13]
	v_add_f64 v[8:9], v[18:19], -v[22:23]
	v_add_f64 v[64:65], v[6:7], v[12:13]
	v_add_f64 v[6:7], v[68:69], v[16:17]
	v_fma_f64 v[73:74], v[10:11], s[6:7], v[0:1]
	v_fma_f64 v[77:78], v[10:11], s[8:9], v[0:1]
	v_add_f64 v[0:1], v[16:17], v[20:21]
	v_fma_f64 v[75:76], v[4:5], s[8:9], v[2:3]
	v_fma_f64 v[79:80], v[4:5], s[6:7], v[2:3]
	v_add_f64 v[2:3], v[18:19], v[22:23]
	v_add_f64 v[4:5], v[70:71], v[18:19]
	v_fma_f64 v[0:1], v[0:1], -0.5, v[68:69]
	v_add_f64 v[68:69], v[6:7], v[20:21]
	v_add_f64 v[6:7], v[52:53], v[24:25]
	v_fma_f64 v[2:3], v[2:3], -0.5, v[70:71]
	v_add_f64 v[70:71], v[4:5], v[22:23]
	v_add_f64 v[4:5], v[16:17], -v[20:21]
	v_fma_f64 v[81:82], v[8:9], s[6:7], v[0:1]
	v_fma_f64 v[91:92], v[8:9], s[8:9], v[0:1]
	v_add_f64 v[0:1], v[24:25], v[28:29]
	v_add_f64 v[8:9], v[26:27], -v[30:31]
	v_fma_f64 v[83:84], v[4:5], s[8:9], v[2:3]
	v_fma_f64 v[93:94], v[4:5], s[6:7], v[2:3]
	v_add_f64 v[2:3], v[26:27], v[30:31]
	v_add_f64 v[4:5], v[54:55], v[26:27]
	v_fma_f64 v[0:1], v[0:1], -0.5, v[52:53]
	v_add_f64 v[52:53], v[6:7], v[28:29]
	v_fma_f64 v[2:3], v[2:3], -0.5, v[54:55]
	v_add_f64 v[54:55], v[4:5], v[30:31]
	v_add_f64 v[4:5], v[24:25], -v[28:29]
	v_mov_b32_e32 v25, 0x6523
	v_mul_u32_u24_sdwa v17, v96, v25 dst_sel:DWORD dst_unused:UNUSED_PAD src0_sel:WORD_0 src1_sel:DWORD
	v_mul_u32_u24_sdwa v25, v109, v25 dst_sel:DWORD dst_unused:UNUSED_PAD src0_sel:WORD_0 src1_sel:DWORD
	v_lshrrev_b32_e32 v39, 23, v17
	v_lshrrev_b32_e32 v25, 23, v25
	v_fma_f64 v[97:98], v[8:9], s[6:7], v[0:1]
	v_fma_f64 v[105:106], v[8:9], s[8:9], v[0:1]
	v_mov_b32_e32 v0, 0x144
	v_mul_lo_u16 v17, 0x144, v39
	v_mul_lo_u16 v25, 0x144, v25
	v_mul_u32_u24_sdwa v0, v85, v0 dst_sel:DWORD dst_unused:UNUSED_PAD src0_sel:WORD_0 src1_sel:DWORD
	v_fma_f64 v[99:100], v[4:5], s[8:9], v[2:3]
	v_fma_f64 v[107:108], v[4:5], s[6:7], v[2:3]
	v_add_lshl_u32 v228, v0, v86, 4
	v_mad_u16 v0, 0x144, v87, v95
	ds_write_b128 v228, v[48:51]
	ds_write_b128 v228, v[56:59] offset:1728
	ds_write_b128 v228, v[60:63] offset:3456
	v_lshlrev_b32_sdwa v227, v90, v0 dst_sel:DWORD dst_unused:UNUSED_PAD src0_sel:DWORD src1_sel:WORD_0
	v_mad_u16 v0, 0x144, v101, v102
	ds_write_b128 v227, v[64:67]
	ds_write_b128 v227, v[73:76] offset:1728
	ds_write_b128 v227, v[77:80] offset:3456
	v_lshlrev_b32_sdwa v226, v90, v0 dst_sel:DWORD dst_unused:UNUSED_PAD src0_sel:DWORD src1_sel:WORD_0
	;; [unrolled: 5-line block ×3, first 2 shown]
	v_lshlrev_b32_e32 v0, 5, v111
	ds_write_b128 v217, v[52:55]
	ds_write_b128 v217, v[97:100] offset:1728
	ds_write_b128 v217, v[105:108] offset:3456
	v_add_co_u32 v56, s12, s10, v0
	v_add_co_ci_u32_e64 v57, null, s11, 0, s12
	buffer_store_dword v111, off, s[20:23], 0 offset:152 ; 4-byte Folded Spill
	v_add_co_u32 v0, vcc_lo, 0x1000, v56
	v_add_co_ci_u32_e32 v1, vcc_lo, 0, v57, vcc_lo
	v_add_co_u32 v2, vcc_lo, 0x13e0, v56
	v_add_co_ci_u32_e32 v3, vcc_lo, 0, v57, vcc_lo
	s_waitcnt lgkmcnt(0)
	s_waitcnt_vscnt null, 0x0
	s_barrier
	buffer_gl0_inv
	s_clause 0x1
	global_load_dwordx4 v[52:55], v[0:1], off offset:992
	global_load_dwordx4 v[48:51], v[2:3], off offset:16
	ds_read_b128 v[58:61], v218 offset:15552
	ds_read_b128 v[91:94], v218 offset:11664
	v_add_co_u32 v8, s12, 0xffffffaf, v111
	v_add_co_ci_u32_e64 v9, null, 0, -1, s12
	v_cmp_gt_u16_e32 vcc_lo, 0x51, v88
	v_sub_nc_u16 v62, v96, v17
	v_sub_nc_u16 v63, v109, v25
	v_cndmask_b32_e32 v9, v9, v72, vcc_lo
	v_cndmask_b32_e32 v8, v8, v89, vcc_lo
	v_lshlrev_b16 v17, 5, v62
	v_lshlrev_b16 v25, 5, v63
	v_lshlrev_b64 v[9:10], 5, v[8:9]
	v_and_b32_e32 v17, 0xffff, v17
	v_and_b32_e32 v25, 0xffff, v25
	v_add_co_u32 v11, vcc_lo, s10, v9
	v_add_co_ci_u32_e32 v12, vcc_lo, s11, v10, vcc_lo
	v_add_co_u32 v19, s12, s10, v17
	v_add_co_u32 v9, vcc_lo, 0x1000, v11
	v_add_co_ci_u32_e32 v10, vcc_lo, 0, v12, vcc_lo
	v_add_co_u32 v11, vcc_lo, 0x13e0, v11
	v_add_co_ci_u32_e32 v12, vcc_lo, 0, v12, vcc_lo
	v_add_co_ci_u32_e64 v20, null, s11, 0, s12
	v_add_co_u32 v17, vcc_lo, 0x1000, v19
	v_add_co_u32 v27, s12, s10, v25
	v_add_co_ci_u32_e32 v18, vcc_lo, 0, v20, vcc_lo
	v_add_co_u32 v19, vcc_lo, 0x13e0, v19
	v_add_co_ci_u32_e32 v20, vcc_lo, 0, v20, vcc_lo
	v_add_co_ci_u32_e64 v28, null, s11, 0, s12
	v_add_co_u32 v25, vcc_lo, 0x1000, v27
	v_add_co_ci_u32_e32 v26, vcc_lo, 0, v28, vcc_lo
	v_add_co_u32 v27, vcc_lo, 0x13e0, v27
	v_add_co_ci_u32_e32 v28, vcc_lo, 0, v28, vcc_lo
	v_cmp_lt_u16_e32 vcc_lo, 0x50, v88
	s_waitcnt vmcnt(1) lgkmcnt(1)
	v_mul_f64 v[0:1], v[60:61], v[54:55]
	v_mul_f64 v[2:3], v[58:59], v[54:55]
	v_fma_f64 v[0:1], v[58:59], v[52:53], -v[0:1]
	v_fma_f64 v[2:3], v[60:61], v[52:53], v[2:3]
	ds_read_b128 v[58:61], v218 offset:31104
	ds_read_b128 v[97:100], v218 offset:27216
	s_clause 0x1
	global_load_dwordx4 v[68:71], v[9:10], off offset:992
	global_load_dwordx4 v[64:67], v[11:12], off offset:16
	s_waitcnt vmcnt(2) lgkmcnt(1)
	v_mul_f64 v[4:5], v[60:61], v[50:51]
	v_mul_f64 v[6:7], v[58:59], v[50:51]
	v_fma_f64 v[4:5], v[58:59], v[48:49], -v[4:5]
	v_fma_f64 v[6:7], v[60:61], v[48:49], v[6:7]
	ds_read_b128 v[58:61], v218 offset:19440
	ds_read_b128 v[80:83], v218 offset:23328
	v_add_f64 v[33:34], v[0:1], v[4:5]
	v_add_f64 v[35:36], v[2:3], v[6:7]
	s_waitcnt vmcnt(1) lgkmcnt(1)
	v_mul_f64 v[9:10], v[60:61], v[70:71]
	v_mul_f64 v[11:12], v[58:59], v[70:71]
	v_fma_f64 v[9:10], v[58:59], v[68:69], -v[9:10]
	v_fma_f64 v[11:12], v[60:61], v[68:69], v[11:12]
	ds_read_b128 v[58:61], v218 offset:34992
	ds_read_b128 v[84:87], v218 offset:38880
	s_clause 0x1
	global_load_dwordx4 v[76:79], v[17:18], off offset:992
	global_load_dwordx4 v[72:75], v[19:20], off offset:16
	s_waitcnt vmcnt(2) lgkmcnt(1)
	v_mul_f64 v[13:14], v[60:61], v[66:67]
	v_mul_f64 v[15:16], v[58:59], v[66:67]
	v_fma_f64 v[13:14], v[58:59], v[64:65], -v[13:14]
	v_fma_f64 v[15:16], v[60:61], v[64:65], v[15:16]
	s_waitcnt vmcnt(1)
	v_mul_f64 v[17:18], v[82:83], v[78:79]
	v_mul_f64 v[19:20], v[80:81], v[78:79]
	s_waitcnt vmcnt(0) lgkmcnt(0)
	v_mul_f64 v[21:22], v[86:87], v[74:75]
	v_mul_f64 v[23:24], v[84:85], v[74:75]
	v_fma_f64 v[17:18], v[80:81], v[76:77], -v[17:18]
	v_fma_f64 v[19:20], v[82:83], v[76:77], v[19:20]
	v_fma_f64 v[21:22], v[84:85], v[72:73], -v[21:22]
	v_fma_f64 v[23:24], v[86:87], v[72:73], v[23:24]
	s_clause 0x1
	global_load_dwordx4 v[84:87], v[25:26], off offset:992
	global_load_dwordx4 v[80:83], v[27:28], off offset:16
	s_waitcnt vmcnt(1)
	v_mul_f64 v[25:26], v[99:100], v[86:87]
	v_mul_f64 v[27:28], v[97:98], v[86:87]
	v_fma_f64 v[25:26], v[97:98], v[84:85], -v[25:26]
	v_fma_f64 v[27:28], v[99:100], v[84:85], v[27:28]
	ds_read_b128 v[58:61], v218 offset:42768
	ds_read_b128 v[97:100], v218
	ds_read_b128 v[236:239], v218 offset:3888
	ds_read_b128 v[240:243], v218 offset:7776
	s_waitcnt vmcnt(0) lgkmcnt(0)
	s_barrier
	buffer_gl0_inv
	v_mul_f64 v[29:30], v[60:61], v[82:83]
	v_mul_f64 v[31:32], v[58:59], v[82:83]
	v_fma_f64 v[33:34], v[33:34], -0.5, v[97:98]
	v_fma_f64 v[35:36], v[35:36], -0.5, v[99:100]
	v_add_f64 v[37:38], v[99:100], v[2:3]
	v_add_f64 v[2:3], v[2:3], -v[6:7]
	v_fma_f64 v[29:30], v[58:59], v[80:81], -v[29:30]
	v_add_f64 v[58:59], v[97:98], v[0:1]
	v_add_f64 v[0:1], v[0:1], -v[4:5]
	v_fma_f64 v[31:32], v[60:61], v[80:81], v[31:32]
	v_add_f64 v[60:61], v[37:38], v[6:7]
	v_fma_f64 v[97:98], v[2:3], s[6:7], v[33:34]
	v_fma_f64 v[105:106], v[2:3], s[8:9], v[33:34]
	v_add_f64 v[2:3], v[11:12], v[15:16]
	v_add_f64 v[6:7], v[236:237], v[9:10]
	;; [unrolled: 1-line block ×3, first 2 shown]
	v_fma_f64 v[99:100], v[0:1], s[8:9], v[35:36]
	v_fma_f64 v[107:108], v[0:1], s[6:7], v[35:36]
	v_add_f64 v[0:1], v[9:10], v[13:14]
	v_add_f64 v[4:5], v[238:239], v[11:12]
	v_add_f64 v[11:12], v[11:12], -v[15:16]
	v_fma_f64 v[2:3], v[2:3], -0.5, v[238:239]
	ds_write_b128 v218, v[58:61]
	ds_write_b128 v218, v[97:100] offset:5184
	ds_write_b128 v218, v[105:108] offset:10368
	v_fma_f64 v[0:1], v[0:1], -0.5, v[236:237]
	v_add_f64 v[238:239], v[4:5], v[15:16]
	v_add_f64 v[4:5], v[9:10], -v[13:14]
	v_add_f64 v[236:237], v[6:7], v[13:14]
	v_add_f64 v[6:7], v[240:241], v[17:18]
	v_add_f64 v[9:10], v[19:20], -v[23:24]
	v_add_f64 v[13:14], v[27:28], -v[31:32]
	v_fma_f64 v[244:245], v[11:12], s[6:7], v[0:1]
	v_fma_f64 v[248:249], v[11:12], s[8:9], v[0:1]
	;; [unrolled: 1-line block ×4, first 2 shown]
	v_add_f64 v[0:1], v[17:18], v[21:22]
	v_add_f64 v[2:3], v[19:20], v[23:24]
	v_add_f64 v[4:5], v[242:243], v[19:20]
	v_add_f64 v[11:12], v[91:92], v[25:26]
	v_fma_f64 v[0:1], v[0:1], -0.5, v[240:241]
	v_fma_f64 v[2:3], v[2:3], -0.5, v[242:243]
	v_add_f64 v[240:241], v[6:7], v[21:22]
	v_add_f64 v[6:7], v[17:18], -v[21:22]
	v_add_f64 v[242:243], v[4:5], v[23:24]
	v_fma_f64 v[252:253], v[9:10], s[6:7], v[0:1]
	v_fma_f64 v[4:5], v[9:10], s[8:9], v[0:1]
	v_add_f64 v[0:1], v[25:26], v[29:30]
	v_fma_f64 v[254:255], v[6:7], s[8:9], v[2:3]
	v_fma_f64 v[6:7], v[6:7], s[6:7], v[2:3]
	v_add_f64 v[2:3], v[27:28], v[31:32]
	v_add_f64 v[9:10], v[93:94], v[27:28]
	v_fma_f64 v[0:1], v[0:1], -0.5, v[91:92]
	v_add_f64 v[91:92], v[11:12], v[29:30]
	v_fma_f64 v[2:3], v[2:3], -0.5, v[93:94]
	v_add_f64 v[93:94], v[9:10], v[31:32]
	v_add_f64 v[9:10], v[25:26], -v[29:30]
	v_fma_f64 v[101:102], v[13:14], s[6:7], v[0:1]
	v_fma_f64 v[0:1], v[13:14], s[8:9], v[0:1]
	v_fma_f64 v[103:104], v[9:10], s[8:9], v[2:3]
	v_fma_f64 v[2:3], v[9:10], s[6:7], v[2:3]
	v_cndmask_b32_e64 v9, 0, 0x3cc, vcc_lo
	v_add_lshl_u32 v216, v8, v9, 4
	v_mad_u16 v8, 0x3cc, v39, v62
	ds_write_b128 v216, v[236:239]
	ds_write_b128 v216, v[244:247] offset:5184
	ds_write_b128 v216, v[248:251] offset:10368
	v_lshlrev_b32_sdwa v236, v90, v8 dst_sel:DWORD dst_unused:UNUSED_PAD src0_sel:DWORD src1_sel:WORD_0
	v_lshlrev_b32_sdwa v237, v90, v63 dst_sel:DWORD dst_unused:UNUSED_PAD src0_sel:DWORD src1_sel:WORD_0
	ds_write_b128 v236, v[240:243]
	ds_write_b128 v236, v[252:255] offset:5184
	ds_write_b128 v236, v[4:7] offset:10368
	;; [unrolled: 1-line block ×5, first 2 shown]
	v_add_co_u32 v0, vcc_lo, 0x3800, v56
	v_add_co_ci_u32_e32 v1, vcc_lo, 0, v57, vcc_lo
	v_add_co_u32 v2, vcc_lo, 0x3c60, v56
	v_add_co_ci_u32_e32 v3, vcc_lo, 0, v57, vcc_lo
	s_waitcnt lgkmcnt(0)
	s_barrier
	buffer_gl0_inv
	s_clause 0x1
	global_load_dwordx4 v[60:63], v[0:1], off offset:1120
	global_load_dwordx4 v[56:59], v[2:3], off offset:16
	ds_read_b128 v[0:3], v218 offset:15552
	ds_read_b128 v[4:7], v218 offset:11664
	s_waitcnt vmcnt(1) lgkmcnt(1)
	v_mul_f64 v[8:9], v[2:3], v[62:63]
	v_fma_f64 v[26:27], v[0:1], v[60:61], -v[8:9]
	v_mul_f64 v[0:1], v[0:1], v[62:63]
	v_fma_f64 v[10:11], v[2:3], v[60:61], v[0:1]
	ds_read_b128 v[0:3], v218 offset:31104
	ds_read_b128 v[238:241], v218 offset:27216
	s_waitcnt vmcnt(0) lgkmcnt(1)
	v_mul_f64 v[12:13], v[2:3], v[58:59]
	v_fma_f64 v[12:13], v[0:1], v[56:57], -v[12:13]
	v_mul_f64 v[0:1], v[0:1], v[58:59]
	v_fma_f64 v[14:15], v[2:3], v[56:57], v[0:1]
	v_lshlrev_b32_e32 v0, 5, v89
	v_add_co_u32 v2, s12, s10, v0
	v_add_co_ci_u32_e64 v3, null, s11, 0, s12
	v_add_co_u32 v0, vcc_lo, 0x3800, v2
	v_add_co_ci_u32_e32 v1, vcc_lo, 0, v3, vcc_lo
	v_add_co_u32 v2, vcc_lo, 0x3c60, v2
	v_add_co_ci_u32_e32 v3, vcc_lo, 0, v3, vcc_lo
	s_clause 0x1
	global_load_dwordx4 v[92:95], v[0:1], off offset:1120
	global_load_dwordx4 v[88:91], v[2:3], off offset:16
	ds_read_b128 v[0:3], v218 offset:19440
	ds_read_b128 v[104:107], v218 offset:23328
	s_waitcnt vmcnt(1) lgkmcnt(1)
	v_mul_f64 v[16:17], v[2:3], v[94:95]
	v_fma_f64 v[16:17], v[0:1], v[92:93], -v[16:17]
	v_mul_f64 v[0:1], v[0:1], v[94:95]
	v_fma_f64 v[18:19], v[2:3], v[92:93], v[0:1]
	ds_read_b128 v[0:3], v218 offset:34992
	ds_read_b128 v[242:245], v218 offset:38880
	s_waitcnt vmcnt(0) lgkmcnt(1)
	v_mul_f64 v[20:21], v[2:3], v[90:91]
	v_fma_f64 v[20:21], v[0:1], v[88:89], -v[20:21]
	v_mul_f64 v[0:1], v[0:1], v[90:91]
	v_fma_f64 v[22:23], v[2:3], v[88:89], v[0:1]
	v_lshlrev_b32_e32 v0, 5, v96
	v_add_co_u32 v2, s12, s10, v0
	v_add_co_ci_u32_e64 v3, null, s11, 0, s12
	v_add_co_u32 v0, vcc_lo, 0x3800, v2
	v_add_co_ci_u32_e32 v1, vcc_lo, 0, v3, vcc_lo
	v_add_co_u32 v2, vcc_lo, 0x3c60, v2
	v_add_co_ci_u32_e32 v3, vcc_lo, 0, v3, vcc_lo
	s_clause 0x1
	global_load_dwordx4 v[100:103], v[0:1], off offset:1120
	global_load_dwordx4 v[96:99], v[2:3], off offset:16
	s_waitcnt vmcnt(1)
	v_mul_f64 v[0:1], v[106:107], v[102:103]
	v_fma_f64 v[28:29], v[104:105], v[100:101], -v[0:1]
	v_mul_f64 v[0:1], v[104:105], v[102:103]
	v_fma_f64 v[30:31], v[106:107], v[100:101], v[0:1]
	s_waitcnt vmcnt(0) lgkmcnt(0)
	v_mul_f64 v[0:1], v[244:245], v[98:99]
	v_fma_f64 v[32:33], v[242:243], v[96:97], -v[0:1]
	v_mul_f64 v[0:1], v[242:243], v[98:99]
	v_fma_f64 v[34:35], v[244:245], v[96:97], v[0:1]
	v_lshlrev_b32_e32 v0, 5, v109
	v_add_co_u32 v2, s10, s10, v0
	v_add_co_ci_u32_e64 v3, null, s11, 0, s10
	v_add_co_u32 v0, vcc_lo, 0x3800, v2
	v_add_co_ci_u32_e32 v1, vcc_lo, 0, v3, vcc_lo
	v_add_co_u32 v2, vcc_lo, 0x3c60, v2
	v_add_co_ci_u32_e32 v3, vcc_lo, 0, v3, vcc_lo
	s_clause 0x1
	global_load_dwordx4 v[108:111], v[0:1], off offset:1120
	global_load_dwordx4 v[104:107], v[2:3], off offset:16
	s_waitcnt vmcnt(1)
	v_mul_f64 v[0:1], v[240:241], v[110:111]
	v_fma_f64 v[36:37], v[238:239], v[108:109], -v[0:1]
	v_mul_f64 v[0:1], v[238:239], v[110:111]
	v_fma_f64 v[38:39], v[240:241], v[108:109], v[0:1]
	ds_read_b128 v[0:3], v218 offset:42768
	ds_read_b128 v[238:241], v218
	ds_read_b128 v[246:249], v218 offset:3888
	ds_read_b128 v[250:253], v218 offset:7776
	s_waitcnt vmcnt(0) lgkmcnt(3)
	v_mul_f64 v[24:25], v[2:3], v[106:107]
	v_fma_f64 v[254:255], v[0:1], v[104:105], -v[24:25]
	v_mul_f64 v[0:1], v[0:1], v[106:107]
	v_fma_f64 v[8:9], v[2:3], v[104:105], v[0:1]
	v_add_f64 v[0:1], v[26:27], v[12:13]
	s_waitcnt lgkmcnt(2)
	v_fma_f64 v[24:25], v[0:1], -0.5, v[238:239]
	v_add_f64 v[0:1], v[10:11], v[14:15]
	v_add_f64 v[238:239], v[238:239], v[26:27]
	v_fma_f64 v[244:245], v[0:1], -0.5, v[240:241]
	v_add_f64 v[0:1], v[240:241], v[10:11]
	v_add_f64 v[10:11], v[10:11], -v[14:15]
	v_add_f64 v[2:3], v[0:1], v[14:15]
	v_add_f64 v[0:1], v[238:239], v[12:13]
	v_add_f64 v[12:13], v[26:27], -v[12:13]
	s_waitcnt lgkmcnt(1)
	v_add_f64 v[14:15], v[248:249], v[18:19]
	v_fma_f64 v[238:239], v[10:11], s[6:7], v[24:25]
	v_fma_f64 v[242:243], v[10:11], s[8:9], v[24:25]
	v_add_f64 v[10:11], v[16:17], v[20:21]
	v_add_f64 v[24:25], v[246:247], v[16:17]
	v_fma_f64 v[240:241], v[12:13], s[8:9], v[244:245]
	v_fma_f64 v[244:245], v[12:13], s[6:7], v[244:245]
	v_add_f64 v[12:13], v[18:19], v[22:23]
	v_add_f64 v[18:19], v[18:19], -v[22:23]
	v_fma_f64 v[10:11], v[10:11], -0.5, v[246:247]
	v_add_f64 v[246:247], v[24:25], v[20:21]
	v_fma_f64 v[12:13], v[12:13], -0.5, v[248:249]
	v_add_f64 v[248:249], v[14:15], v[22:23]
	v_add_f64 v[14:15], v[16:17], -v[20:21]
	v_fma_f64 v[24:25], v[18:19], s[6:7], v[10:11]
	v_fma_f64 v[20:21], v[18:19], s[8:9], v[10:11]
	v_add_f64 v[10:11], v[28:29], v[32:33]
	s_waitcnt lgkmcnt(0)
	v_add_f64 v[16:17], v[250:251], v[28:29]
	v_add_f64 v[18:19], v[30:31], -v[34:35]
	v_fma_f64 v[26:27], v[14:15], s[8:9], v[12:13]
	v_fma_f64 v[22:23], v[14:15], s[6:7], v[12:13]
	v_add_f64 v[12:13], v[30:31], v[34:35]
	v_add_f64 v[14:15], v[252:253], v[30:31]
	v_fma_f64 v[10:11], v[10:11], -0.5, v[250:251]
	v_add_f64 v[250:251], v[16:17], v[32:33]
	v_fma_f64 v[12:13], v[12:13], -0.5, v[252:253]
	v_add_f64 v[252:253], v[14:15], v[34:35]
	v_add_f64 v[14:15], v[28:29], -v[32:33]
	v_fma_f64 v[32:33], v[18:19], s[6:7], v[10:11]
	v_fma_f64 v[28:29], v[18:19], s[8:9], v[10:11]
	v_add_f64 v[10:11], v[36:37], v[254:255]
	v_fma_f64 v[34:35], v[14:15], s[8:9], v[12:13]
	v_fma_f64 v[30:31], v[14:15], s[6:7], v[12:13]
	v_add_f64 v[12:13], v[38:39], v[8:9]
	v_fma_f64 v[10:11], v[10:11], -0.5, v[4:5]
	v_add_f64 v[4:5], v[4:5], v[36:37]
	v_add_f64 v[14:15], v[38:39], -v[8:9]
	v_fma_f64 v[18:19], v[12:13], -0.5, v[6:7]
	v_add_f64 v[6:7], v[6:7], v[38:39]
	v_add_f64 v[4:5], v[4:5], v[254:255]
	v_fma_f64 v[12:13], v[14:15], s[6:7], v[10:11]
	v_fma_f64 v[16:17], v[14:15], s[8:9], v[10:11]
	v_add_f64 v[6:7], v[6:7], v[8:9]
	v_add_f64 v[8:9], v[36:37], -v[254:255]
	v_fma_f64 v[14:15], v[8:9], s[8:9], v[18:19]
	v_fma_f64 v[18:19], v[8:9], s[6:7], v[18:19]
	ds_write_b128 v218, v[0:3]
	ds_write_b128 v218, v[246:249] offset:3888
	ds_write_b128 v218, v[250:253] offset:7776
	;; [unrolled: 1-line block ×11, first 2 shown]
	v_add_co_u32 v0, vcc_lo, 0xb000, v219
	v_add_co_ci_u32_e32 v1, vcc_lo, 0, v220, vcc_lo
	v_add_co_u32 v4, vcc_lo, 0xd000, v219
	v_add_co_ci_u32_e32 v5, vcc_lo, 0, v220, vcc_lo
	s_waitcnt lgkmcnt(0)
	s_barrier
	buffer_gl0_inv
	s_clause 0x1
	global_load_dwordx4 v[0:3], v[0:1], off offset:1600
	global_load_dwordx4 v[4:7], v[4:5], off offset:1184
	ds_read_b128 v[8:11], v218
	ds_read_b128 v[12:15], v218 offset:42768
	s_waitcnt vmcnt(1) lgkmcnt(1)
	v_mul_f64 v[16:17], v[10:11], v[2:3]
	v_mul_f64 v[2:3], v[8:9], v[2:3]
	v_fma_f64 v[36:37], v[8:9], v[0:1], -v[16:17]
	v_fma_f64 v[38:39], v[10:11], v[0:1], v[2:3]
	ds_read_b128 v[0:3], v218 offset:7776
	ds_read_b128 v[16:19], v218 offset:3888
	s_waitcnt vmcnt(0) lgkmcnt(1)
	v_mul_f64 v[8:9], v[2:3], v[6:7]
	v_mul_f64 v[6:7], v[0:1], v[6:7]
	v_fma_f64 v[32:33], v[0:1], v[4:5], -v[8:9]
	v_add_co_u32 v0, vcc_lo, 0xf000, v219
	v_add_co_ci_u32_e32 v1, vcc_lo, 0, v220, vcc_lo
	v_fma_f64 v[34:35], v[2:3], v[4:5], v[6:7]
	v_add_co_u32 v2, vcc_lo, 0x11000, v219
	v_add_co_ci_u32_e32 v3, vcc_lo, 0, v220, vcc_lo
	s_clause 0x1
	global_load_dwordx4 v[4:7], v[0:1], off offset:768
	global_load_dwordx4 v[20:23], v[2:3], off offset:352
	ds_read_b128 v[24:27], v218 offset:15552
	ds_read_b128 v[28:31], v218 offset:11664
	s_waitcnt vmcnt(1) lgkmcnt(1)
	v_mul_f64 v[0:1], v[26:27], v[6:7]
	v_mul_f64 v[2:3], v[24:25], v[6:7]
	v_fma_f64 v[24:25], v[24:25], v[4:5], -v[0:1]
	v_fma_f64 v[26:27], v[26:27], v[4:5], v[2:3]
	ds_read_b128 v[4:7], v218 offset:23328
	ds_read_b128 v[238:241], v218 offset:19440
	s_waitcnt vmcnt(0) lgkmcnt(1)
	v_mul_f64 v[0:1], v[6:7], v[22:23]
	v_mul_f64 v[2:3], v[4:5], v[22:23]
	v_fma_f64 v[8:9], v[4:5], v[20:21], -v[0:1]
	v_add_co_u32 v0, vcc_lo, 0x12800, v219
	v_add_co_ci_u32_e32 v1, vcc_lo, 0, v220, vcc_lo
	v_fma_f64 v[10:11], v[6:7], v[20:21], v[2:3]
	v_add_co_u32 v2, vcc_lo, 0x14800, v219
	v_add_co_ci_u32_e32 v3, vcc_lo, 0, v220, vcc_lo
	s_clause 0x1
	global_load_dwordx4 v[20:23], v[0:1], off offset:1984
	global_load_dwordx4 v[242:245], v[2:3], off offset:1568
	ds_read_b128 v[246:249], v218 offset:31104
	ds_read_b128 v[250:253], v218 offset:27216
	s_waitcnt vmcnt(1) lgkmcnt(1)
	v_mul_f64 v[0:1], v[248:249], v[22:23]
	v_mul_f64 v[2:3], v[246:247], v[22:23]
	v_fma_f64 v[246:247], v[246:247], v[20:21], -v[0:1]
	v_fma_f64 v[248:249], v[248:249], v[20:21], v[2:3]
	ds_read_b128 v[20:23], v218 offset:38880
	ds_read_b128 v[4:7], v218 offset:34992
	s_waitcnt vmcnt(0) lgkmcnt(1)
	v_mul_f64 v[0:1], v[22:23], v[244:245]
	v_mul_f64 v[2:3], v[20:21], v[244:245]
	v_fma_f64 v[20:21], v[20:21], v[242:243], -v[0:1]
	v_add_co_u32 v0, vcc_lo, 0xc000, v219
	v_add_co_ci_u32_e32 v1, vcc_lo, 0, v220, vcc_lo
	v_fma_f64 v[22:23], v[22:23], v[242:243], v[2:3]
	v_add_co_u32 v2, vcc_lo, 0xe000, v219
	v_add_co_ci_u32_e32 v3, vcc_lo, 0, v220, vcc_lo
	s_clause 0x1
	global_load_dwordx4 v[242:245], v[0:1], off offset:1392
	global_load_dwordx4 v[0:3], v[2:3], off offset:976
	s_waitcnt vmcnt(1)
	v_mul_f64 v[254:255], v[18:19], v[244:245]
	v_mul_f64 v[244:245], v[16:17], v[244:245]
	v_fma_f64 v[16:17], v[16:17], v[242:243], -v[254:255]
	v_fma_f64 v[18:19], v[18:19], v[242:243], v[244:245]
	s_waitcnt vmcnt(0)
	v_mul_f64 v[242:243], v[30:31], v[2:3]
	v_mul_f64 v[2:3], v[28:29], v[2:3]
	v_fma_f64 v[28:29], v[28:29], v[0:1], -v[242:243]
	v_fma_f64 v[30:31], v[30:31], v[0:1], v[2:3]
	v_add_co_u32 v0, vcc_lo, 0x10000, v219
	v_add_co_ci_u32_e32 v1, vcc_lo, 0, v220, vcc_lo
	v_add_co_u32 v242, vcc_lo, 0x12000, v219
	v_add_co_ci_u32_e32 v243, vcc_lo, 0, v220, vcc_lo
	s_clause 0x1
	global_load_dwordx4 v[0:3], v[0:1], off offset:560
	global_load_dwordx4 v[242:245], v[242:243], off offset:144
	s_waitcnt vmcnt(1)
	v_mul_f64 v[254:255], v[240:241], v[2:3]
	v_mul_f64 v[2:3], v[238:239], v[2:3]
	v_fma_f64 v[238:239], v[238:239], v[0:1], -v[254:255]
	v_fma_f64 v[240:241], v[240:241], v[0:1], v[2:3]
	s_waitcnt vmcnt(0)
	v_mul_f64 v[0:1], v[252:253], v[244:245]
	v_mul_f64 v[2:3], v[250:251], v[244:245]
	v_fma_f64 v[0:1], v[250:251], v[242:243], -v[0:1]
	v_fma_f64 v[2:3], v[252:253], v[242:243], v[2:3]
	v_add_co_u32 v242, vcc_lo, 0x13800, v219
	v_add_co_ci_u32_e32 v243, vcc_lo, 0, v220, vcc_lo
	v_add_co_u32 v219, vcc_lo, 0x15800, v219
	v_add_co_ci_u32_e32 v220, vcc_lo, 0, v220, vcc_lo
	s_clause 0x1
	global_load_dwordx4 v[242:245], v[242:243], off offset:1776
	global_load_dwordx4 v[250:253], v[219:220], off offset:1360
	s_waitcnt vmcnt(1) lgkmcnt(0)
	v_mul_f64 v[219:220], v[6:7], v[244:245]
	v_mul_f64 v[244:245], v[4:5], v[244:245]
	v_fma_f64 v[4:5], v[4:5], v[242:243], -v[219:220]
	v_fma_f64 v[6:7], v[6:7], v[242:243], v[244:245]
	s_waitcnt vmcnt(0)
	v_mul_f64 v[219:220], v[14:15], v[252:253]
	v_mul_f64 v[242:243], v[12:13], v[252:253]
	v_fma_f64 v[12:13], v[12:13], v[250:251], -v[219:220]
	v_fma_f64 v[14:15], v[14:15], v[250:251], v[242:243]
	ds_write_b128 v218, v[36:39]
	ds_write_b128 v218, v[32:35] offset:7776
	ds_write_b128 v218, v[24:27] offset:15552
	ds_write_b128 v218, v[8:11] offset:23328
	ds_write_b128 v218, v[246:249] offset:31104
	ds_write_b128 v218, v[20:23] offset:38880
	ds_write_b128 v218, v[16:19] offset:3888
	ds_write_b128 v218, v[28:31] offset:11664
	ds_write_b128 v218, v[238:241] offset:19440
	ds_write_b128 v218, v[0:3] offset:27216
	ds_write_b128 v218, v[4:7] offset:34992
	ds_write_b128 v218, v[12:15] offset:42768
	s_waitcnt lgkmcnt(0)
	s_barrier
	buffer_gl0_inv
	ds_read_b128 v[0:3], v218
	ds_read_b128 v[4:7], v218 offset:15552
	ds_read_b128 v[8:11], v218 offset:11664
	;; [unrolled: 1-line block ×5, first 2 shown]
	s_waitcnt lgkmcnt(4)
	v_add_f64 v[24:25], v[0:1], v[4:5]
	v_add_f64 v[26:27], v[2:3], v[6:7]
	s_waitcnt lgkmcnt(1)
	v_add_f64 v[219:220], v[4:5], v[16:17]
	v_add_f64 v[238:239], v[6:7], -v[18:19]
	v_add_f64 v[240:241], v[6:7], v[18:19]
	v_add_f64 v[242:243], v[4:5], -v[16:17]
	v_add_f64 v[244:245], v[24:25], v[16:17]
	v_add_f64 v[246:247], v[26:27], v[18:19]
	ds_read_b128 v[4:7], v218 offset:23328
	ds_read_b128 v[16:19], v218 offset:7776
	;; [unrolled: 1-line block ×6, first 2 shown]
	v_fma_f64 v[219:220], v[219:220], -0.5, v[0:1]
	v_fma_f64 v[240:241], v[240:241], -0.5, v[2:3]
	s_waitcnt lgkmcnt(0)
	s_barrier
	buffer_gl0_inv
	v_add_f64 v[248:249], v[16:17], v[4:5]
	v_add_f64 v[250:251], v[18:19], v[6:7]
	;; [unrolled: 1-line block ×4, first 2 shown]
	v_add_f64 v[4:5], v[4:5], -v[32:33]
	v_add_f64 v[6:7], v[6:7], -v[34:35]
	v_add_f64 v[32:33], v[248:249], v[32:33]
	v_add_f64 v[34:35], v[250:251], v[34:35]
	v_fma_f64 v[252:253], v[252:253], -0.5, v[18:19]
	v_fma_f64 v[254:255], v[254:255], -0.5, v[16:17]
	v_add_f64 v[0:1], v[244:245], v[32:33]
	v_add_f64 v[248:249], v[244:245], -v[32:33]
	v_fma_f64 v[16:17], v[4:5], s[6:7], v[252:253]
	v_fma_f64 v[32:33], v[6:7], s[8:9], v[254:255]
	;; [unrolled: 1-line block ×3, first 2 shown]
	v_add_f64 v[2:3], v[246:247], v[34:35]
	v_add_f64 v[250:251], v[246:247], -v[34:35]
	v_fma_f64 v[246:247], v[242:243], s[6:7], v[240:241]
	v_fma_f64 v[6:7], v[6:7], s[6:7], v[254:255]
	v_mul_f64 v[18:19], v[16:17], s[8:9]
	v_mul_f64 v[16:17], v[16:17], 0.5
	v_fma_f64 v[34:35], v[32:33], 0.5, v[18:19]
	v_fma_f64 v[244:245], v[32:33], s[6:7], v[16:17]
	v_fma_f64 v[32:33], v[238:239], s[8:9], v[219:220]
	;; [unrolled: 1-line block ×3, first 2 shown]
	v_mul_f64 v[238:239], v[4:5], s[8:9]
	v_mul_f64 v[4:5], v[4:5], -0.5
	v_add_f64 v[18:19], v[246:247], v[244:245]
	v_add_f64 v[16:17], v[32:33], v[34:35]
	v_add_f64 v[32:33], v[32:33], -v[34:35]
	v_add_f64 v[34:35], v[246:247], -v[244:245]
	v_fma_f64 v[244:245], v[242:243], s[8:9], v[240:241]
	v_fma_f64 v[242:243], v[6:7], -0.5, v[238:239]
	v_fma_f64 v[4:5], v[6:7], s[6:7], v[4:5]
	v_add_f64 v[6:7], v[30:31], v[38:39]
	v_add_f64 v[238:239], v[219:220], v[242:243]
	;; [unrolled: 1-line block ×3, first 2 shown]
	v_add_f64 v[242:243], v[219:220], -v[242:243]
	v_add_f64 v[244:245], v[244:245], -v[4:5]
	ds_write_b128 v221, v[0:3]
	ds_write_b128 v221, v[248:251] offset:48
	ds_write_b128 v221, v[16:19] offset:16
	;; [unrolled: 1-line block ×5, first 2 shown]
	v_add_f64 v[0:1], v[24:25], v[28:29]
	v_add_f64 v[32:33], v[22:23], v[14:15]
	;; [unrolled: 1-line block ×4, first 2 shown]
	v_add_f64 v[18:19], v[28:29], -v[36:37]
	v_add_f64 v[34:35], v[20:21], v[12:13]
	v_add_f64 v[16:17], v[30:31], -v[38:39]
	v_fma_f64 v[26:27], v[6:7], -0.5, v[26:27]
	v_add_f64 v[28:29], v[0:1], v[36:37]
	v_add_f64 v[0:1], v[8:9], v[20:21]
	v_add_f64 v[20:21], v[20:21], -v[12:13]
	v_fma_f64 v[32:33], v[32:33], -0.5, v[10:11]
	v_add_f64 v[30:31], v[2:3], v[38:39]
	v_add_f64 v[2:3], v[10:11], v[22:23]
	v_add_f64 v[22:23], v[22:23], -v[14:15]
	v_fma_f64 v[34:35], v[34:35], -0.5, v[8:9]
	v_fma_f64 v[24:25], v[4:5], -0.5, v[24:25]
	v_add_f64 v[12:13], v[0:1], v[12:13]
	v_fma_f64 v[8:9], v[20:21], s[6:7], v[32:33]
	v_fma_f64 v[20:21], v[20:21], s[8:9], v[32:33]
	v_add_f64 v[14:15], v[2:3], v[14:15]
	v_add_f64 v[0:1], v[28:29], v[12:13]
	v_add_f64 v[4:5], v[28:29], -v[12:13]
	v_mul_f64 v[10:11], v[8:9], s[8:9]
	v_mul_f64 v[8:9], v[8:9], 0.5
	v_fma_f64 v[12:13], v[22:23], s[8:9], v[34:35]
	v_add_f64 v[2:3], v[30:31], v[14:15]
	v_add_f64 v[6:7], v[30:31], -v[14:15]
	v_fma_f64 v[30:31], v[18:19], s[6:7], v[26:27]
	v_fma_f64 v[26:27], v[18:19], s[8:9], v[26:27]
	v_mul_f64 v[18:19], v[20:21], s[8:9]
	v_mul_f64 v[20:21], v[20:21], -0.5
	v_fma_f64 v[14:15], v[12:13], 0.5, v[10:11]
	v_fma_f64 v[28:29], v[12:13], s[6:7], v[8:9]
	v_fma_f64 v[12:13], v[16:17], s[8:9], v[24:25]
	v_fma_f64 v[24:25], v[16:17], s[6:7], v[24:25]
	v_fma_f64 v[16:17], v[22:23], s[6:7], v[34:35]
	v_add_f64 v[10:11], v[30:31], v[28:29]
	v_add_f64 v[8:9], v[12:13], v[14:15]
	v_add_f64 v[12:13], v[12:13], -v[14:15]
	v_add_f64 v[14:15], v[30:31], -v[28:29]
	v_fma_f64 v[22:23], v[16:17], -0.5, v[18:19]
	v_fma_f64 v[28:29], v[16:17], s[6:7], v[20:21]
	v_add_f64 v[16:17], v[24:25], v[22:23]
	v_add_f64 v[18:19], v[26:27], v[28:29]
	v_add_f64 v[20:21], v[24:25], -v[22:23]
	v_add_f64 v[22:23], v[26:27], -v[28:29]
	ds_write_b128 v235, v[0:3]
	ds_write_b128 v235, v[8:11] offset:16
	ds_write_b128 v235, v[16:19] offset:32
	;; [unrolled: 1-line block ×5, first 2 shown]
	s_waitcnt lgkmcnt(0)
	s_barrier
	buffer_gl0_inv
	ds_read_b128 v[0:3], v218 offset:7776
	ds_read_b128 v[4:7], v218 offset:3888
	s_waitcnt lgkmcnt(1)
	v_mul_f64 v[8:9], v[214:215], v[2:3]
	v_fma_f64 v[24:25], v[212:213], v[0:1], v[8:9]
	v_mul_f64 v[0:1], v[214:215], v[0:1]
	v_fma_f64 v[26:27], v[212:213], v[2:3], -v[0:1]
	ds_read_b128 v[0:3], v218 offset:15552
	ds_read_b128 v[8:11], v218 offset:11664
	s_waitcnt lgkmcnt(1)
	v_mul_f64 v[12:13], v[210:211], v[2:3]
	v_fma_f64 v[28:29], v[208:209], v[0:1], v[12:13]
	v_mul_f64 v[0:1], v[210:211], v[0:1]
	v_fma_f64 v[30:31], v[208:209], v[2:3], -v[0:1]
	;; [unrolled: 7-line block ×5, first 2 shown]
	v_mul_f64 v[0:1], v[194:195], v[10:11]
	v_fma_f64 v[184:185], v[192:193], v[8:9], v[0:1]
	v_mul_f64 v[0:1], v[194:195], v[8:9]
	v_fma_f64 v[186:187], v[192:193], v[10:11], -v[0:1]
	v_mul_f64 v[0:1], v[206:207], v[14:15]
	v_fma_f64 v[192:193], v[204:205], v[12:13], v[0:1]
	v_mul_f64 v[0:1], v[206:207], v[12:13]
	v_fma_f64 v[194:195], v[204:205], v[14:15], -v[0:1]
	;; [unrolled: 4-line block ×3, first 2 shown]
	s_waitcnt lgkmcnt(0)
	v_mul_f64 v[0:1], v[202:203], v[22:23]
	v_fma_f64 v[190:191], v[200:201], v[20:21], v[0:1]
	v_mul_f64 v[0:1], v[202:203], v[20:21]
	v_fma_f64 v[198:199], v[200:201], v[22:23], -v[0:1]
	ds_read_b128 v[0:3], v218 offset:42768
	ds_read_b128 v[8:11], v218
	s_waitcnt lgkmcnt(0)
	s_barrier
	buffer_gl0_inv
	v_mul_f64 v[12:13], v[182:183], v[2:3]
	v_fma_f64 v[200:201], v[180:181], v[0:1], v[12:13]
	v_mul_f64 v[0:1], v[182:183], v[0:1]
	v_fma_f64 v[180:181], v[180:181], v[2:3], -v[0:1]
	v_add_f64 v[0:1], v[28:29], v[36:37]
	v_add_f64 v[2:3], v[10:11], v[30:31]
	v_fma_f64 v[20:21], v[0:1], -0.5, v[8:9]
	v_add_f64 v[0:1], v[30:31], v[38:39]
	v_add_f64 v[30:31], v[30:31], -v[38:39]
	v_fma_f64 v[22:23], v[0:1], -0.5, v[10:11]
	v_add_f64 v[0:1], v[8:9], v[28:29]
	v_add_f64 v[10:11], v[2:3], v[38:39]
	v_add_f64 v[28:29], v[28:29], -v[36:37]
	v_add_f64 v[8:9], v[0:1], v[36:37]
	v_add_f64 v[0:1], v[24:25], v[32:33]
	v_fma_f64 v[38:39], v[28:29], s[6:7], v[22:23]
	v_fma_f64 v[28:29], v[28:29], s[8:9], v[22:23]
	v_add_f64 v[12:13], v[0:1], v[176:177]
	v_add_f64 v[0:1], v[26:27], v[34:35]
	;; [unrolled: 1-line block ×4, first 2 shown]
	v_add_f64 v[8:9], v[8:9], -v[12:13]
	v_add_f64 v[12:13], v[32:33], v[176:177]
	v_add_f64 v[32:33], v[32:33], -v[176:177]
	v_add_f64 v[2:3], v[10:11], v[14:15]
	;; [unrolled: 2-line block ×3, first 2 shown]
	v_add_f64 v[34:35], v[34:35], -v[178:179]
	v_fma_f64 v[24:25], v[12:13], -0.5, v[24:25]
	v_fma_f64 v[26:27], v[14:15], -0.5, v[26:27]
	v_fma_f64 v[16:17], v[34:35], s[8:9], v[24:25]
	v_fma_f64 v[24:25], v[34:35], s[6:7], v[24:25]
	v_fma_f64 v[12:13], v[32:33], s[6:7], v[26:27]
	v_fma_f64 v[26:27], v[32:33], s[8:9], v[26:27]
	v_mul_f64 v[14:15], v[12:13], s[8:9]
	v_mul_f64 v[12:13], v[12:13], 0.5
	v_mul_f64 v[22:23], v[26:27], -0.5
	v_fma_f64 v[18:19], v[16:17], 0.5, v[14:15]
	v_fma_f64 v[36:37], v[16:17], s[6:7], v[12:13]
	v_fma_f64 v[16:17], v[30:31], s[8:9], v[20:21]
	;; [unrolled: 1-line block ×3, first 2 shown]
	v_mul_f64 v[20:21], v[26:27], s[8:9]
	v_fma_f64 v[32:33], v[24:25], s[6:7], v[22:23]
	v_add_f64 v[14:15], v[38:39], v[36:37]
	v_add_f64 v[12:13], v[16:17], v[18:19]
	v_add_f64 v[16:17], v[16:17], -v[18:19]
	v_fma_f64 v[26:27], v[24:25], -0.5, v[20:21]
	v_add_f64 v[22:23], v[28:29], v[32:33]
	v_add_f64 v[18:19], v[38:39], -v[36:37]
	v_add_f64 v[20:21], v[30:31], v[26:27]
	v_add_f64 v[24:25], v[30:31], -v[26:27]
	v_add_f64 v[26:27], v[28:29], -v[32:33]
	ds_write_b128 v234, v[0:3]
	ds_write_b128 v234, v[8:11] offset:288
	ds_write_b128 v234, v[12:15] offset:96
	;; [unrolled: 1-line block ×5, first 2 shown]
	v_add_f64 v[0:1], v[192:193], v[190:191]
	v_add_f64 v[2:3], v[6:7], v[194:195]
	v_add_f64 v[20:21], v[196:197], -v[200:201]
	v_add_f64 v[26:27], v[188:189], -v[180:181]
	v_add_f64 v[24:25], v[192:193], -v[190:191]
	v_add_f64 v[28:29], v[194:195], -v[198:199]
	v_fma_f64 v[16:17], v[0:1], -0.5, v[4:5]
	v_add_f64 v[0:1], v[194:195], v[198:199]
	v_fma_f64 v[18:19], v[0:1], -0.5, v[6:7]
	v_add_f64 v[0:1], v[4:5], v[192:193]
	v_add_f64 v[6:7], v[2:3], v[198:199]
	v_fma_f64 v[34:35], v[24:25], s[6:7], v[18:19]
	v_add_f64 v[4:5], v[0:1], v[190:191]
	v_add_f64 v[0:1], v[184:185], v[196:197]
	v_fma_f64 v[24:25], v[24:25], s[8:9], v[18:19]
	v_add_f64 v[8:9], v[0:1], v[200:201]
	v_add_f64 v[0:1], v[186:187], v[188:189]
	;; [unrolled: 1-line block ×4, first 2 shown]
	v_add_f64 v[4:5], v[4:5], -v[8:9]
	v_add_f64 v[8:9], v[196:197], v[200:201]
	v_add_f64 v[2:3], v[6:7], v[10:11]
	v_add_f64 v[6:7], v[6:7], -v[10:11]
	v_add_f64 v[10:11], v[188:189], v[180:181]
	v_fma_f64 v[30:31], v[8:9], -0.5, v[184:185]
	v_fma_f64 v[22:23], v[10:11], -0.5, v[186:187]
	v_fma_f64 v[12:13], v[26:27], s[8:9], v[30:31]
	v_fma_f64 v[8:9], v[20:21], s[6:7], v[22:23]
	v_fma_f64 v[20:21], v[20:21], s[8:9], v[22:23]
	v_fma_f64 v[22:23], v[26:27], s[6:7], v[30:31]
	v_fma_f64 v[26:27], v[28:29], s[6:7], v[16:17]
	v_mul_f64 v[10:11], v[8:9], s[8:9]
	v_mul_f64 v[8:9], v[8:9], 0.5
	v_mul_f64 v[18:19], v[20:21], -0.5
	v_fma_f64 v[14:15], v[12:13], 0.5, v[10:11]
	v_fma_f64 v[32:33], v[12:13], s[6:7], v[8:9]
	v_fma_f64 v[12:13], v[28:29], s[8:9], v[16:17]
	v_mul_f64 v[16:17], v[20:21], s[8:9]
	v_add_f64 v[10:11], v[34:35], v[32:33]
	v_add_f64 v[8:9], v[12:13], v[14:15]
	v_fma_f64 v[20:21], v[22:23], -0.5, v[16:17]
	v_fma_f64 v[22:23], v[22:23], s[6:7], v[18:19]
	v_add_f64 v[12:13], v[12:13], -v[14:15]
	v_add_f64 v[14:15], v[34:35], -v[32:33]
	v_add_f64 v[16:17], v[26:27], v[20:21]
	v_add_f64 v[18:19], v[24:25], v[22:23]
	v_add_f64 v[20:21], v[26:27], -v[20:21]
	v_add_f64 v[22:23], v[24:25], -v[22:23]
	ds_write_b128 v233, v[0:3]
	ds_write_b128 v233, v[8:11] offset:96
	ds_write_b128 v233, v[16:19] offset:192
	;; [unrolled: 1-line block ×5, first 2 shown]
	s_waitcnt lgkmcnt(0)
	s_barrier
	buffer_gl0_inv
	ds_read_b128 v[0:3], v218 offset:15552
	ds_read_b128 v[4:7], v218 offset:11664
	s_waitcnt lgkmcnt(1)
	v_mul_f64 v[8:9], v[150:151], v[2:3]
	v_fma_f64 v[20:21], v[148:149], v[0:1], v[8:9]
	v_mul_f64 v[0:1], v[150:151], v[0:1]
	v_fma_f64 v[22:23], v[148:149], v[2:3], -v[0:1]
	ds_read_b128 v[0:3], v218 offset:31104
	ds_read_b128 v[8:11], v218 offset:27216
	s_waitcnt lgkmcnt(1)
	v_mul_f64 v[12:13], v[146:147], v[2:3]
	v_fma_f64 v[24:25], v[144:145], v[0:1], v[12:13]
	v_mul_f64 v[0:1], v[146:147], v[0:1]
	v_fma_f64 v[26:27], v[144:145], v[2:3], -v[0:1]
	ds_read_b128 v[0:3], v218 offset:19440
	ds_read_b128 v[12:15], v218 offset:23328
	s_waitcnt lgkmcnt(1)
	v_mul_f64 v[16:17], v[158:159], v[2:3]
	v_fma_f64 v[28:29], v[156:157], v[0:1], v[16:17]
	v_mul_f64 v[0:1], v[158:159], v[0:1]
	v_fma_f64 v[30:31], v[156:157], v[2:3], -v[0:1]
	ds_read_b128 v[0:3], v218 offset:34992
	ds_read_b128 v[16:19], v218 offset:38880
	s_waitcnt lgkmcnt(1)
	v_mul_f64 v[32:33], v[154:155], v[2:3]
	v_fma_f64 v[32:33], v[152:153], v[0:1], v[32:33]
	v_mul_f64 v[0:1], v[154:155], v[0:1]
	v_fma_f64 v[34:35], v[152:153], v[2:3], -v[0:1]
	v_mul_f64 v[0:1], v[166:167], v[14:15]
	v_fma_f64 v[36:37], v[164:165], v[12:13], v[0:1]
	v_mul_f64 v[0:1], v[166:167], v[12:13]
	v_fma_f64 v[38:39], v[164:165], v[14:15], -v[0:1]
	s_waitcnt lgkmcnt(0)
	v_mul_f64 v[0:1], v[162:163], v[18:19]
	v_fma_f64 v[144:145], v[160:161], v[16:17], v[0:1]
	v_mul_f64 v[0:1], v[162:163], v[16:17]
	v_add_f64 v[16:17], v[20:21], -v[24:25]
	v_fma_f64 v[146:147], v[160:161], v[18:19], -v[0:1]
	v_mul_f64 v[0:1], v[174:175], v[10:11]
	v_fma_f64 v[148:149], v[172:173], v[8:9], v[0:1]
	v_mul_f64 v[0:1], v[174:175], v[8:9]
	v_fma_f64 v[150:151], v[172:173], v[10:11], -v[0:1]
	ds_read_b128 v[0:3], v218 offset:42768
	ds_read_b128 v[8:11], v218
	s_waitcnt lgkmcnt(1)
	v_mul_f64 v[12:13], v[170:171], v[2:3]
	v_fma_f64 v[152:153], v[168:169], v[0:1], v[12:13]
	v_mul_f64 v[0:1], v[170:171], v[0:1]
	v_fma_f64 v[154:155], v[168:169], v[2:3], -v[0:1]
	v_add_f64 v[0:1], v[20:21], v[24:25]
	s_waitcnt lgkmcnt(0)
	v_fma_f64 v[12:13], v[0:1], -0.5, v[8:9]
	v_add_f64 v[0:1], v[22:23], v[26:27]
	v_add_f64 v[8:9], v[8:9], v[20:21]
	v_fma_f64 v[14:15], v[0:1], -0.5, v[10:11]
	v_add_f64 v[0:1], v[10:11], v[22:23]
	v_add_f64 v[10:11], v[22:23], -v[26:27]
	v_add_f64 v[2:3], v[0:1], v[26:27]
	v_add_f64 v[0:1], v[8:9], v[24:25]
	v_fma_f64 v[8:9], v[10:11], s[8:9], v[12:13]
	v_fma_f64 v[12:13], v[10:11], s[6:7], v[12:13]
	;; [unrolled: 1-line block ×4, first 2 shown]
	ds_read_b128 v[16:19], v218 offset:3888
	ds_read_b128 v[20:23], v218 offset:7776
	s_waitcnt lgkmcnt(0)
	s_barrier
	buffer_gl0_inv
	ds_write_b128 v232, v[0:3]
	ds_write_b128 v232, v[8:11] offset:576
	ds_write_b128 v232, v[12:15] offset:1152
	v_add_f64 v[0:1], v[28:29], v[32:33]
	v_add_f64 v[8:9], v[16:17], v[28:29]
	v_add_f64 v[12:13], v[30:31], -v[34:35]
	v_fma_f64 v[10:11], v[0:1], -0.5, v[16:17]
	v_add_f64 v[0:1], v[30:31], v[34:35]
	v_add_f64 v[16:17], v[28:29], -v[32:33]
	v_fma_f64 v[14:15], v[0:1], -0.5, v[18:19]
	v_add_f64 v[0:1], v[18:19], v[30:31]
	v_add_f64 v[2:3], v[0:1], v[34:35]
	;; [unrolled: 1-line block ×3, first 2 shown]
	v_fma_f64 v[8:9], v[12:13], s[8:9], v[10:11]
	v_fma_f64 v[12:13], v[12:13], s[6:7], v[10:11]
	v_fma_f64 v[10:11], v[16:17], s[6:7], v[14:15]
	v_fma_f64 v[14:15], v[16:17], s[8:9], v[14:15]
	ds_write_b128 v231, v[0:3]
	ds_write_b128 v231, v[8:11] offset:576
	ds_write_b128 v231, v[12:15] offset:1152
	v_add_f64 v[0:1], v[36:37], v[144:145]
	v_add_f64 v[8:9], v[20:21], v[36:37]
	v_add_f64 v[12:13], v[38:39], -v[146:147]
	v_add_f64 v[16:17], v[36:37], -v[144:145]
	v_fma_f64 v[10:11], v[0:1], -0.5, v[20:21]
	v_add_f64 v[0:1], v[38:39], v[146:147]
	v_fma_f64 v[14:15], v[0:1], -0.5, v[22:23]
	v_add_f64 v[0:1], v[22:23], v[38:39]
	v_add_f64 v[2:3], v[0:1], v[146:147]
	;; [unrolled: 1-line block ×3, first 2 shown]
	v_fma_f64 v[8:9], v[12:13], s[8:9], v[10:11]
	v_fma_f64 v[12:13], v[12:13], s[6:7], v[10:11]
	;; [unrolled: 1-line block ×4, first 2 shown]
	ds_write_b128 v230, v[0:3]
	ds_write_b128 v230, v[8:11] offset:576
	ds_write_b128 v230, v[12:15] offset:1152
	v_add_f64 v[0:1], v[148:149], v[152:153]
	v_add_f64 v[12:13], v[148:149], -v[152:153]
	v_fma_f64 v[8:9], v[0:1], -0.5, v[4:5]
	v_add_f64 v[0:1], v[150:151], v[154:155]
	v_add_f64 v[4:5], v[4:5], v[148:149]
	v_fma_f64 v[10:11], v[0:1], -0.5, v[6:7]
	v_add_f64 v[0:1], v[6:7], v[150:151]
	v_add_f64 v[6:7], v[150:151], -v[154:155]
	v_add_f64 v[2:3], v[0:1], v[154:155]
	v_add_f64 v[0:1], v[4:5], v[152:153]
	v_fma_f64 v[4:5], v[6:7], s[8:9], v[8:9]
	v_fma_f64 v[8:9], v[6:7], s[6:7], v[8:9]
	;; [unrolled: 1-line block ×4, first 2 shown]
	ds_write_b128 v229, v[0:3]
	ds_write_b128 v229, v[4:7] offset:576
	ds_write_b128 v229, v[8:11] offset:1152
	s_waitcnt lgkmcnt(0)
	s_barrier
	buffer_gl0_inv
	ds_read_b128 v[0:3], v218 offset:15552
	ds_read_b128 v[4:7], v218 offset:11664
	s_waitcnt lgkmcnt(1)
	v_mul_f64 v[8:9], v[118:119], v[2:3]
	v_fma_f64 v[20:21], v[116:117], v[0:1], v[8:9]
	v_mul_f64 v[0:1], v[118:119], v[0:1]
	v_fma_f64 v[22:23], v[116:117], v[2:3], -v[0:1]
	ds_read_b128 v[0:3], v218 offset:31104
	ds_read_b128 v[8:11], v218 offset:27216
	s_waitcnt lgkmcnt(1)
	v_mul_f64 v[12:13], v[114:115], v[2:3]
	v_fma_f64 v[24:25], v[112:113], v[0:1], v[12:13]
	v_mul_f64 v[0:1], v[114:115], v[0:1]
	v_fma_f64 v[26:27], v[112:113], v[2:3], -v[0:1]
	;; [unrolled: 7-line block ×4, first 2 shown]
	v_mul_f64 v[0:1], v[134:135], v[14:15]
	v_fma_f64 v[36:37], v[132:133], v[12:13], v[0:1]
	v_mul_f64 v[0:1], v[134:135], v[12:13]
	v_fma_f64 v[38:39], v[132:133], v[14:15], -v[0:1]
	s_waitcnt lgkmcnt(0)
	v_mul_f64 v[0:1], v[130:131], v[18:19]
	v_fma_f64 v[112:113], v[128:129], v[16:17], v[0:1]
	v_mul_f64 v[0:1], v[130:131], v[16:17]
	v_add_f64 v[16:17], v[20:21], -v[24:25]
	v_fma_f64 v[114:115], v[128:129], v[18:19], -v[0:1]
	v_mul_f64 v[0:1], v[142:143], v[10:11]
	v_fma_f64 v[116:117], v[140:141], v[8:9], v[0:1]
	v_mul_f64 v[0:1], v[142:143], v[8:9]
	v_fma_f64 v[118:119], v[140:141], v[10:11], -v[0:1]
	ds_read_b128 v[0:3], v218 offset:42768
	ds_read_b128 v[8:11], v218
	s_waitcnt lgkmcnt(1)
	v_mul_f64 v[12:13], v[138:139], v[2:3]
	v_fma_f64 v[120:121], v[136:137], v[0:1], v[12:13]
	v_mul_f64 v[0:1], v[138:139], v[0:1]
	v_fma_f64 v[122:123], v[136:137], v[2:3], -v[0:1]
	v_add_f64 v[0:1], v[20:21], v[24:25]
	s_waitcnt lgkmcnt(0)
	v_fma_f64 v[12:13], v[0:1], -0.5, v[8:9]
	v_add_f64 v[0:1], v[22:23], v[26:27]
	v_add_f64 v[8:9], v[8:9], v[20:21]
	v_fma_f64 v[14:15], v[0:1], -0.5, v[10:11]
	v_add_f64 v[0:1], v[10:11], v[22:23]
	v_add_f64 v[10:11], v[22:23], -v[26:27]
	v_add_f64 v[2:3], v[0:1], v[26:27]
	v_add_f64 v[0:1], v[8:9], v[24:25]
	v_fma_f64 v[8:9], v[10:11], s[8:9], v[12:13]
	v_fma_f64 v[12:13], v[10:11], s[6:7], v[12:13]
	;; [unrolled: 1-line block ×4, first 2 shown]
	ds_read_b128 v[16:19], v218 offset:3888
	ds_read_b128 v[20:23], v218 offset:7776
	s_waitcnt lgkmcnt(0)
	s_barrier
	buffer_gl0_inv
	ds_write_b128 v228, v[0:3]
	ds_write_b128 v228, v[8:11] offset:1728
	ds_write_b128 v228, v[12:15] offset:3456
	v_add_f64 v[0:1], v[28:29], v[32:33]
	v_add_f64 v[8:9], v[16:17], v[28:29]
	v_add_f64 v[12:13], v[30:31], -v[34:35]
	v_fma_f64 v[10:11], v[0:1], -0.5, v[16:17]
	v_add_f64 v[0:1], v[30:31], v[34:35]
	v_add_f64 v[16:17], v[28:29], -v[32:33]
	v_fma_f64 v[14:15], v[0:1], -0.5, v[18:19]
	v_add_f64 v[0:1], v[18:19], v[30:31]
	v_add_f64 v[2:3], v[0:1], v[34:35]
	v_add_f64 v[0:1], v[8:9], v[32:33]
	v_fma_f64 v[8:9], v[12:13], s[8:9], v[10:11]
	v_fma_f64 v[12:13], v[12:13], s[6:7], v[10:11]
	;; [unrolled: 1-line block ×4, first 2 shown]
	ds_write_b128 v227, v[0:3]
	ds_write_b128 v227, v[8:11] offset:1728
	ds_write_b128 v227, v[12:15] offset:3456
	v_add_f64 v[0:1], v[36:37], v[112:113]
	v_add_f64 v[8:9], v[20:21], v[36:37]
	v_add_f64 v[12:13], v[38:39], -v[114:115]
	v_add_f64 v[16:17], v[36:37], -v[112:113]
	v_fma_f64 v[10:11], v[0:1], -0.5, v[20:21]
	v_add_f64 v[0:1], v[38:39], v[114:115]
	v_fma_f64 v[14:15], v[0:1], -0.5, v[22:23]
	v_add_f64 v[0:1], v[22:23], v[38:39]
	v_add_f64 v[2:3], v[0:1], v[114:115]
	;; [unrolled: 1-line block ×3, first 2 shown]
	v_fma_f64 v[8:9], v[12:13], s[8:9], v[10:11]
	v_fma_f64 v[12:13], v[12:13], s[6:7], v[10:11]
	;; [unrolled: 1-line block ×4, first 2 shown]
	ds_write_b128 v226, v[0:3]
	ds_write_b128 v226, v[8:11] offset:1728
	ds_write_b128 v226, v[12:15] offset:3456
	v_add_f64 v[0:1], v[116:117], v[120:121]
	v_add_f64 v[12:13], v[116:117], -v[120:121]
	v_fma_f64 v[8:9], v[0:1], -0.5, v[4:5]
	v_add_f64 v[0:1], v[118:119], v[122:123]
	v_add_f64 v[4:5], v[4:5], v[116:117]
	v_fma_f64 v[10:11], v[0:1], -0.5, v[6:7]
	v_add_f64 v[0:1], v[6:7], v[118:119]
	v_add_f64 v[6:7], v[118:119], -v[122:123]
	v_add_f64 v[2:3], v[0:1], v[122:123]
	v_add_f64 v[0:1], v[4:5], v[120:121]
	v_fma_f64 v[4:5], v[6:7], s[8:9], v[8:9]
	v_fma_f64 v[8:9], v[6:7], s[6:7], v[8:9]
	;; [unrolled: 1-line block ×4, first 2 shown]
	ds_write_b128 v217, v[0:3]
	ds_write_b128 v217, v[4:7] offset:1728
	ds_write_b128 v217, v[8:11] offset:3456
	s_waitcnt lgkmcnt(0)
	s_barrier
	buffer_gl0_inv
	ds_read_b128 v[112:115], v218 offset:15552
	ds_read_b128 v[0:3], v218 offset:11664
	s_waitcnt lgkmcnt(1)
	v_mul_f64 v[4:5], v[54:55], v[114:115]
	v_fma_f64 v[20:21], v[52:53], v[112:113], v[4:5]
	v_mul_f64 v[4:5], v[54:55], v[112:113]
	v_fma_f64 v[22:23], v[52:53], v[114:115], -v[4:5]
	ds_read_b128 v[4:7], v218 offset:31104
	ds_read_b128 v[8:11], v218 offset:27216
	s_waitcnt lgkmcnt(1)
	v_mul_f64 v[12:13], v[50:51], v[6:7]
	v_fma_f64 v[24:25], v[48:49], v[4:5], v[12:13]
	v_mul_f64 v[4:5], v[50:51], v[4:5]
	v_fma_f64 v[26:27], v[48:49], v[6:7], -v[4:5]
	;; [unrolled: 7-line block ×4, first 2 shown]
	v_mul_f64 v[4:5], v[78:79], v[14:15]
	v_fma_f64 v[36:37], v[76:77], v[12:13], v[4:5]
	v_mul_f64 v[4:5], v[78:79], v[12:13]
	v_fma_f64 v[38:39], v[76:77], v[14:15], -v[4:5]
	s_waitcnt lgkmcnt(0)
	v_mul_f64 v[4:5], v[74:75], v[18:19]
	v_fma_f64 v[48:49], v[72:73], v[16:17], v[4:5]
	v_mul_f64 v[4:5], v[74:75], v[16:17]
	v_add_f64 v[16:17], v[20:21], -v[24:25]
	v_fma_f64 v[50:51], v[72:73], v[18:19], -v[4:5]
	v_mul_f64 v[4:5], v[86:87], v[10:11]
	v_fma_f64 v[52:53], v[84:85], v[8:9], v[4:5]
	v_mul_f64 v[4:5], v[86:87], v[8:9]
	v_fma_f64 v[54:55], v[84:85], v[10:11], -v[4:5]
	ds_read_b128 v[4:7], v218 offset:42768
	ds_read_b128 v[8:11], v218
	s_waitcnt lgkmcnt(1)
	v_mul_f64 v[12:13], v[82:83], v[6:7]
	v_fma_f64 v[64:65], v[80:81], v[4:5], v[12:13]
	v_mul_f64 v[4:5], v[82:83], v[4:5]
	v_fma_f64 v[66:67], v[80:81], v[6:7], -v[4:5]
	v_add_f64 v[4:5], v[20:21], v[24:25]
	s_waitcnt lgkmcnt(0)
	v_fma_f64 v[12:13], v[4:5], -0.5, v[8:9]
	v_add_f64 v[4:5], v[22:23], v[26:27]
	v_add_f64 v[8:9], v[8:9], v[20:21]
	v_fma_f64 v[14:15], v[4:5], -0.5, v[10:11]
	v_add_f64 v[4:5], v[10:11], v[22:23]
	v_add_f64 v[10:11], v[22:23], -v[26:27]
	v_add_f64 v[6:7], v[4:5], v[26:27]
	v_add_f64 v[4:5], v[8:9], v[24:25]
	;; [unrolled: 1-line block ×3, first 2 shown]
	v_fma_f64 v[8:9], v[10:11], s[8:9], v[12:13]
	v_fma_f64 v[12:13], v[10:11], s[6:7], v[12:13]
	;; [unrolled: 1-line block ×4, first 2 shown]
	ds_read_b128 v[16:19], v218 offset:3888
	ds_read_b128 v[20:23], v218 offset:7776
	s_waitcnt lgkmcnt(0)
	s_barrier
	buffer_gl0_inv
	v_fma_f64 v[26:27], v[24:25], -0.5, v[16:17]
	v_add_f64 v[24:25], v[30:31], v[34:35]
	v_add_f64 v[16:17], v[16:17], v[28:29]
	v_fma_f64 v[68:69], v[24:25], -0.5, v[18:19]
	v_add_f64 v[18:19], v[18:19], v[30:31]
	v_add_f64 v[30:31], v[30:31], -v[34:35]
	v_add_f64 v[16:17], v[16:17], v[32:33]
	v_add_f64 v[32:33], v[28:29], -v[32:33]
	v_add_f64 v[18:19], v[18:19], v[34:35]
	v_fma_f64 v[24:25], v[30:31], s[8:9], v[26:27]
	v_fma_f64 v[28:29], v[30:31], s[6:7], v[26:27]
	;; [unrolled: 1-line block ×4, first 2 shown]
	ds_write_b128 v218, v[4:7]
	ds_write_b128 v218, v[8:11] offset:5184
	ds_write_b128 v218, v[12:15] offset:10368
	ds_write_b128 v216, v[16:19]
	ds_write_b128 v216, v[24:27] offset:5184
	ds_write_b128 v216, v[28:31] offset:10368
	v_add_f64 v[4:5], v[36:37], v[48:49]
	v_add_f64 v[8:9], v[20:21], v[36:37]
	v_add_f64 v[12:13], v[38:39], -v[50:51]
	v_add_f64 v[16:17], v[36:37], -v[48:49]
	v_fma_f64 v[10:11], v[4:5], -0.5, v[20:21]
	v_add_f64 v[4:5], v[38:39], v[50:51]
	v_fma_f64 v[14:15], v[4:5], -0.5, v[22:23]
	v_add_f64 v[4:5], v[22:23], v[38:39]
	v_add_f64 v[6:7], v[4:5], v[50:51]
	;; [unrolled: 1-line block ×3, first 2 shown]
	v_fma_f64 v[8:9], v[12:13], s[8:9], v[10:11]
	v_fma_f64 v[12:13], v[12:13], s[6:7], v[10:11]
	;; [unrolled: 1-line block ×4, first 2 shown]
	ds_write_b128 v236, v[4:7]
	ds_write_b128 v236, v[8:11] offset:5184
	ds_write_b128 v236, v[12:15] offset:10368
	v_add_f64 v[4:5], v[52:53], v[64:65]
	v_add_f64 v[8:9], v[54:55], -v[66:67]
	v_add_f64 v[12:13], v[52:53], -v[64:65]
	v_fma_f64 v[6:7], v[4:5], -0.5, v[0:1]
	v_add_f64 v[4:5], v[54:55], v[66:67]
	v_add_f64 v[0:1], v[0:1], v[52:53]
	v_fma_f64 v[10:11], v[4:5], -0.5, v[2:3]
	v_add_f64 v[2:3], v[2:3], v[54:55]
	v_add_f64 v[0:1], v[0:1], v[64:65]
	v_fma_f64 v[4:5], v[8:9], s[8:9], v[6:7]
	v_fma_f64 v[8:9], v[8:9], s[6:7], v[6:7]
	;; [unrolled: 1-line block ×3, first 2 shown]
	v_add_f64 v[2:3], v[2:3], v[66:67]
	v_fma_f64 v[10:11], v[12:13], s[8:9], v[10:11]
	ds_write_b128 v237, v[0:3] offset:31104
	ds_write_b128 v237, v[4:7] offset:36288
	;; [unrolled: 1-line block ×3, first 2 shown]
	s_waitcnt lgkmcnt(0)
	s_barrier
	buffer_gl0_inv
	ds_read_b128 v[0:3], v218 offset:15552
	ds_read_b128 v[4:7], v218 offset:11664
	s_waitcnt lgkmcnt(1)
	v_mul_f64 v[8:9], v[62:63], v[2:3]
	v_fma_f64 v[20:21], v[60:61], v[0:1], v[8:9]
	v_mul_f64 v[0:1], v[62:63], v[0:1]
	v_fma_f64 v[22:23], v[60:61], v[2:3], -v[0:1]
	ds_read_b128 v[0:3], v218 offset:31104
	ds_read_b128 v[8:11], v218 offset:27216
	s_waitcnt lgkmcnt(1)
	v_mul_f64 v[12:13], v[58:59], v[2:3]
	v_fma_f64 v[24:25], v[56:57], v[0:1], v[12:13]
	v_mul_f64 v[0:1], v[58:59], v[0:1]
	v_fma_f64 v[26:27], v[56:57], v[2:3], -v[0:1]
	;; [unrolled: 7-line block ×4, first 2 shown]
	v_mul_f64 v[0:1], v[102:103], v[14:15]
	v_fma_f64 v[36:37], v[100:101], v[12:13], v[0:1]
	v_mul_f64 v[0:1], v[102:103], v[12:13]
	v_fma_f64 v[38:39], v[100:101], v[14:15], -v[0:1]
	s_waitcnt lgkmcnt(0)
	v_mul_f64 v[0:1], v[98:99], v[18:19]
	v_fma_f64 v[48:49], v[96:97], v[16:17], v[0:1]
	v_mul_f64 v[0:1], v[98:99], v[16:17]
	v_add_f64 v[16:17], v[20:21], -v[24:25]
	v_fma_f64 v[50:51], v[96:97], v[18:19], -v[0:1]
	v_mul_f64 v[0:1], v[110:111], v[10:11]
	v_fma_f64 v[52:53], v[108:109], v[8:9], v[0:1]
	v_mul_f64 v[0:1], v[110:111], v[8:9]
	v_fma_f64 v[54:55], v[108:109], v[10:11], -v[0:1]
	ds_read_b128 v[0:3], v218 offset:42768
	ds_read_b128 v[8:11], v218
	s_waitcnt lgkmcnt(1)
	v_mul_f64 v[12:13], v[106:107], v[2:3]
	v_fma_f64 v[56:57], v[104:105], v[0:1], v[12:13]
	v_mul_f64 v[0:1], v[106:107], v[0:1]
	v_fma_f64 v[58:59], v[104:105], v[2:3], -v[0:1]
	v_add_f64 v[0:1], v[20:21], v[24:25]
	s_waitcnt lgkmcnt(0)
	v_fma_f64 v[12:13], v[0:1], -0.5, v[8:9]
	v_add_f64 v[0:1], v[22:23], v[26:27]
	v_add_f64 v[8:9], v[8:9], v[20:21]
	v_fma_f64 v[14:15], v[0:1], -0.5, v[10:11]
	v_add_f64 v[0:1], v[10:11], v[22:23]
	v_add_f64 v[10:11], v[22:23], -v[26:27]
	v_add_f64 v[2:3], v[0:1], v[26:27]
	v_add_f64 v[0:1], v[8:9], v[24:25]
	;; [unrolled: 1-line block ×3, first 2 shown]
	v_fma_f64 v[8:9], v[10:11], s[8:9], v[12:13]
	v_fma_f64 v[12:13], v[10:11], s[6:7], v[12:13]
	;; [unrolled: 1-line block ×4, first 2 shown]
	ds_read_b128 v[16:19], v218 offset:3888
	ds_read_b128 v[20:23], v218 offset:7776
	s_waitcnt lgkmcnt(1)
	v_fma_f64 v[26:27], v[24:25], -0.5, v[16:17]
	v_add_f64 v[24:25], v[30:31], v[34:35]
	v_add_f64 v[16:17], v[16:17], v[28:29]
	v_fma_f64 v[60:61], v[24:25], -0.5, v[18:19]
	v_add_f64 v[18:19], v[18:19], v[30:31]
	v_add_f64 v[30:31], v[30:31], -v[34:35]
	v_add_f64 v[16:17], v[16:17], v[32:33]
	v_add_f64 v[32:33], v[28:29], -v[32:33]
	v_add_f64 v[18:19], v[18:19], v[34:35]
	v_fma_f64 v[24:25], v[30:31], s[8:9], v[26:27]
	v_fma_f64 v[28:29], v[30:31], s[6:7], v[26:27]
	;; [unrolled: 1-line block ×4, first 2 shown]
	v_add_f64 v[32:33], v[36:37], v[48:49]
	s_waitcnt lgkmcnt(0)
	v_fma_f64 v[34:35], v[32:33], -0.5, v[20:21]
	v_add_f64 v[32:33], v[38:39], v[50:51]
	v_add_f64 v[20:21], v[20:21], v[36:37]
	v_fma_f64 v[60:61], v[32:33], -0.5, v[22:23]
	v_add_f64 v[22:23], v[22:23], v[38:39]
	v_add_f64 v[38:39], v[38:39], -v[50:51]
	v_add_f64 v[20:21], v[20:21], v[48:49]
	v_add_f64 v[48:49], v[36:37], -v[48:49]
	v_add_f64 v[22:23], v[22:23], v[50:51]
	v_fma_f64 v[32:33], v[38:39], s[8:9], v[34:35]
	v_fma_f64 v[36:37], v[38:39], s[6:7], v[34:35]
	;; [unrolled: 1-line block ×4, first 2 shown]
	v_add_f64 v[48:49], v[52:53], v[56:57]
	v_fma_f64 v[50:51], v[48:49], -0.5, v[4:5]
	v_add_f64 v[48:49], v[54:55], v[58:59]
	v_add_f64 v[4:5], v[4:5], v[52:53]
	v_fma_f64 v[60:61], v[48:49], -0.5, v[6:7]
	v_add_f64 v[6:7], v[6:7], v[54:55]
	v_add_f64 v[54:55], v[54:55], -v[58:59]
	v_add_f64 v[4:5], v[4:5], v[56:57]
	v_add_f64 v[56:57], v[52:53], -v[56:57]
	v_add_f64 v[6:7], v[6:7], v[58:59]
	v_fma_f64 v[48:49], v[54:55], s[8:9], v[50:51]
	v_fma_f64 v[52:53], v[54:55], s[6:7], v[50:51]
	;; [unrolled: 1-line block ×4, first 2 shown]
	ds_write_b128 v218, v[0:3]
	ds_write_b128 v218, v[16:19] offset:3888
	ds_write_b128 v218, v[20:23] offset:7776
	;; [unrolled: 1-line block ×11, first 2 shown]
	s_waitcnt lgkmcnt(0)
	s_barrier
	buffer_gl0_inv
	ds_read_b128 v[0:3], v218
	ds_read_b128 v[4:7], v218 offset:42768
	s_clause 0x3
	buffer_load_dword v30, off, s[20:23], 0 offset:136
	buffer_load_dword v31, off, s[20:23], 0 offset:140
	;; [unrolled: 1-line block ×4, first 2 shown]
	ds_read_b128 v[8:11], v218 offset:7776
	ds_read_b128 v[12:15], v218 offset:3888
	s_clause 0x3
	buffer_load_dword v24, off, s[20:23], 0 offset:120
	buffer_load_dword v25, off, s[20:23], 0 offset:124
	;; [unrolled: 1-line block ×4, first 2 shown]
	s_waitcnt vmcnt(4) lgkmcnt(3)
	v_mul_f64 v[16:17], v[32:33], v[2:3]
	v_mul_f64 v[18:19], v[32:33], v[0:1]
	s_waitcnt vmcnt(0) lgkmcnt(1)
	v_mul_f64 v[20:21], v[26:27], v[10:11]
	v_mul_f64 v[22:23], v[26:27], v[8:9]
	v_fma_f64 v[28:29], v[30:31], v[0:1], v[16:17]
	v_fma_f64 v[30:31], v[30:31], v[2:3], -v[18:19]
	ds_read_b128 v[0:3], v218 offset:15552
	ds_read_b128 v[16:19], v218 offset:11664
	v_fma_f64 v[32:33], v[24:25], v[8:9], v[20:21]
	v_fma_f64 v[34:35], v[24:25], v[10:11], -v[22:23]
	s_clause 0x3
	buffer_load_dword v24, off, s[20:23], 0 offset:104
	buffer_load_dword v25, off, s[20:23], 0 offset:108
	;; [unrolled: 1-line block ×4, first 2 shown]
	ds_read_b128 v[8:11], v218 offset:23328
	s_waitcnt vmcnt(0) lgkmcnt(2)
	v_mul_f64 v[20:21], v[26:27], v[2:3]
	v_mul_f64 v[22:23], v[26:27], v[0:1]
	v_fma_f64 v[36:37], v[24:25], v[0:1], v[20:21]
	v_fma_f64 v[38:39], v[24:25], v[2:3], -v[22:23]
	ds_read_b128 v[0:3], v218 offset:19440
	s_clause 0x3
	buffer_load_dword v24, off, s[20:23], 0 offset:88
	buffer_load_dword v25, off, s[20:23], 0 offset:92
	;; [unrolled: 1-line block ×4, first 2 shown]
	s_waitcnt vmcnt(0) lgkmcnt(1)
	v_mul_f64 v[20:21], v[26:27], v[10:11]
	v_mul_f64 v[22:23], v[26:27], v[8:9]
	v_fma_f64 v[48:49], v[24:25], v[8:9], v[20:21]
	v_fma_f64 v[50:51], v[24:25], v[10:11], -v[22:23]
	ds_read_b128 v[8:11], v218 offset:31104
	ds_read_b128 v[20:23], v218 offset:27216
	s_clause 0x3
	buffer_load_dword v54, off, s[20:23], 0 offset:72
	buffer_load_dword v55, off, s[20:23], 0 offset:76
	buffer_load_dword v56, off, s[20:23], 0 offset:80
	buffer_load_dword v57, off, s[20:23], 0 offset:84
	s_waitcnt vmcnt(0) lgkmcnt(1)
	v_mul_f64 v[24:25], v[56:57], v[10:11]
	v_fma_f64 v[52:53], v[54:55], v[8:9], v[24:25]
	v_mul_f64 v[8:9], v[56:57], v[8:9]
	v_fma_f64 v[54:55], v[54:55], v[10:11], -v[8:9]
	ds_read_b128 v[8:11], v218 offset:38880
	ds_read_b128 v[24:27], v218 offset:34992
	s_clause 0x3
	buffer_load_dword v58, off, s[20:23], 0 offset:56
	buffer_load_dword v59, off, s[20:23], 0 offset:60
	;; [unrolled: 1-line block ×4, first 2 shown]
	s_waitcnt vmcnt(0) lgkmcnt(1)
	v_mul_f64 v[56:57], v[60:61], v[10:11]
	v_fma_f64 v[56:57], v[58:59], v[8:9], v[56:57]
	v_mul_f64 v[8:9], v[60:61], v[8:9]
	v_fma_f64 v[58:59], v[58:59], v[10:11], -v[8:9]
	v_mul_f64 v[8:9], v[224:225], v[14:15]
	s_clause 0x1
	buffer_load_dword v10, off, s[20:23], 0
	buffer_load_dword v11, off, s[20:23], 0 offset:4
	v_fma_f64 v[60:61], v[222:223], v[12:13], v[8:9]
	v_mul_f64 v[8:9], v[224:225], v[12:13]
	buffer_load_dword v12, off, s[20:23], 0 offset:152 ; 4-byte Folded Reload
	v_fma_f64 v[62:63], v[222:223], v[14:15], -v[8:9]
	v_mul_f64 v[14:15], v[46:47], v[16:17]
	s_waitcnt vmcnt(2)
	v_mad_u64_u32 v[8:9], null, s2, v10, 0
	v_mad_u64_u32 v[9:10], null, s3, v10, v[9:10]
	s_load_dwordx2 s[2:3], s[4:5], 0x38
	s_mul_i32 s4, s0, 0x1e60
	v_lshlrev_b64 v[8:9], 4, v[8:9]
	s_waitcnt vmcnt(0)
	v_mad_u64_u32 v[10:11], null, s0, v12, 0
	s_waitcnt lgkmcnt(0)
	v_add_co_u32 v8, vcc_lo, s2, v8
	v_mad_u64_u32 v[11:12], null, s1, v12, v[11:12]
	v_mul_f64 v[12:13], v[46:47], v[18:19]
	v_add_co_ci_u32_e32 v9, vcc_lo, s3, v9, vcc_lo
	s_mul_i32 s2, s1, 0x1e60
	s_mul_hi_u32 s3, s0, 0x1e60
	s_mul_i32 s1, s1, 0xffff7750
	v_lshlrev_b64 v[10:11], 4, v[10:11]
	s_add_i32 s3, s3, s2
	v_add_co_u32 v64, vcc_lo, v8, v10
	v_add_co_ci_u32_e32 v65, vcc_lo, v9, v11, vcc_lo
	v_add_co_u32 v66, vcc_lo, v64, s4
	v_add_co_ci_u32_e32 v67, vcc_lo, s3, v65, vcc_lo
	v_fma_f64 v[46:47], v[44:45], v[16:17], v[12:13]
	v_fma_f64 v[44:45], v[44:45], v[18:19], -v[14:15]
	v_mul_f64 v[12:13], v[42:43], v[2:3]
	v_mul_f64 v[14:15], v[42:43], v[0:1]
	s_clause 0x3
	buffer_load_dword v16, off, s[20:23], 0 offset:40
	buffer_load_dword v17, off, s[20:23], 0 offset:44
	;; [unrolled: 1-line block ×4, first 2 shown]
	v_add_co_u32 v68, vcc_lo, v66, s4
	v_add_co_ci_u32_e32 v69, vcc_lo, s3, v67, vcc_lo
	v_add_co_u32 v70, vcc_lo, v68, s4
	v_add_co_ci_u32_e32 v71, vcc_lo, s3, v69, vcc_lo
	;; [unrolled: 2-line block ×4, first 2 shown]
	v_fma_f64 v[42:43], v[40:41], v[0:1], v[12:13]
	v_fma_f64 v[40:41], v[40:41], v[2:3], -v[14:15]
	s_clause 0x3
	buffer_load_dword v12, off, s[20:23], 0 offset:24
	buffer_load_dword v13, off, s[20:23], 0 offset:28
	;; [unrolled: 1-line block ×4, first 2 shown]
	v_mad_u64_u32 v[84:85], null, 0xffff7750, s0, v[78:79]
	s_sub_i32 s0, s1, s0
	v_add_nc_u32_e32 v85, s0, v85
	s_mov_b32 s0, 0xe0bf08c7
	s_mov_b32 s1, 0x3f367980
	v_add_co_u32 v86, vcc_lo, v84, s4
	v_add_co_ci_u32_e32 v87, vcc_lo, s3, v85, vcc_lo
	v_add_co_u32 v88, vcc_lo, v86, s4
	v_add_co_ci_u32_e32 v89, vcc_lo, s3, v87, vcc_lo
	s_waitcnt vmcnt(4)
	v_mul_f64 v[8:9], v[18:19], v[22:23]
	v_mul_f64 v[10:11], v[18:19], v[20:21]
	v_mov_b32_e32 v19, v17
	v_mov_b32_e32 v18, v16
	s_waitcnt vmcnt(2)
	v_mov_b32_e32 v17, v13
	s_waitcnt vmcnt(0)
	v_mul_f64 v[0:1], v[14:15], v[26:27]
	v_mul_f64 v[2:3], v[14:15], v[24:25]
	v_mov_b32_e32 v16, v12
	s_clause 0x3
	buffer_load_dword v12, off, s[20:23], 0 offset:8
	buffer_load_dword v13, off, s[20:23], 0 offset:12
	;; [unrolled: 1-line block ×4, first 2 shown]
	v_fma_f64 v[72:73], v[18:19], v[20:21], v[8:9]
	v_fma_f64 v[74:75], v[18:19], v[22:23], -v[10:11]
	v_mul_f64 v[18:19], v[54:55], s[0:1]
	v_mul_f64 v[20:21], v[56:57], s[0:1]
	v_mul_f64 v[22:23], v[58:59], s[0:1]
	v_fma_f64 v[80:81], v[16:17], v[24:25], v[0:1]
	v_fma_f64 v[82:83], v[16:17], v[26:27], -v[2:3]
	v_mul_f64 v[0:1], v[28:29], s[0:1]
	v_mul_f64 v[2:3], v[30:31], s[0:1]
	;; [unrolled: 1-line block ×7, first 2 shown]
	s_waitcnt vmcnt(0)
	v_mul_f64 v[8:9], v[14:15], v[6:7]
	v_mul_f64 v[10:11], v[14:15], v[4:5]
	v_mul_f64 v[14:15], v[50:51], s[0:1]
	v_fma_f64 v[90:91], v[12:13], v[4:5], v[8:9]
	v_fma_f64 v[92:93], v[12:13], v[6:7], -v[10:11]
	v_mul_f64 v[4:5], v[32:33], s[0:1]
	v_mul_f64 v[6:7], v[34:35], s[0:1]
	;; [unrolled: 1-line block ×11, first 2 shown]
	v_add_co_u32 v48, vcc_lo, v88, s4
	v_add_co_ci_u32_e32 v49, vcc_lo, s3, v89, vcc_lo
	v_add_co_u32 v50, vcc_lo, v48, s4
	v_add_co_ci_u32_e32 v51, vcc_lo, s3, v49, vcc_lo
	v_mul_f64 v[44:45], v[90:91], s[0:1]
	v_mul_f64 v[46:47], v[92:93], s[0:1]
	v_add_co_u32 v52, vcc_lo, v50, s4
	v_add_co_ci_u32_e32 v53, vcc_lo, s3, v51, vcc_lo
	global_store_dwordx4 v[64:65], v[0:3], off
	global_store_dwordx4 v[66:67], v[4:7], off
	;; [unrolled: 1-line block ×12, first 2 shown]
.LBB0_2:
	s_endpgm
	.section	.rodata,"a",@progbits
	.p2align	6, 0x0
	.amdhsa_kernel bluestein_single_back_len2916_dim1_dp_op_CI_CI
		.amdhsa_group_segment_fixed_size 46656
		.amdhsa_private_segment_fixed_size 160
		.amdhsa_kernarg_size 104
		.amdhsa_user_sgpr_count 6
		.amdhsa_user_sgpr_private_segment_buffer 1
		.amdhsa_user_sgpr_dispatch_ptr 0
		.amdhsa_user_sgpr_queue_ptr 0
		.amdhsa_user_sgpr_kernarg_segment_ptr 1
		.amdhsa_user_sgpr_dispatch_id 0
		.amdhsa_user_sgpr_flat_scratch_init 0
		.amdhsa_user_sgpr_private_segment_size 0
		.amdhsa_wavefront_size32 1
		.amdhsa_uses_dynamic_stack 0
		.amdhsa_system_sgpr_private_segment_wavefront_offset 1
		.amdhsa_system_sgpr_workgroup_id_x 1
		.amdhsa_system_sgpr_workgroup_id_y 0
		.amdhsa_system_sgpr_workgroup_id_z 0
		.amdhsa_system_sgpr_workgroup_info 0
		.amdhsa_system_vgpr_workitem_id 0
		.amdhsa_next_free_vgpr 256
		.amdhsa_next_free_sgpr 24
		.amdhsa_reserve_vcc 1
		.amdhsa_reserve_flat_scratch 0
		.amdhsa_float_round_mode_32 0
		.amdhsa_float_round_mode_16_64 0
		.amdhsa_float_denorm_mode_32 3
		.amdhsa_float_denorm_mode_16_64 3
		.amdhsa_dx10_clamp 1
		.amdhsa_ieee_mode 1
		.amdhsa_fp16_overflow 0
		.amdhsa_workgroup_processor_mode 1
		.amdhsa_memory_ordered 1
		.amdhsa_forward_progress 0
		.amdhsa_shared_vgpr_count 0
		.amdhsa_exception_fp_ieee_invalid_op 0
		.amdhsa_exception_fp_denorm_src 0
		.amdhsa_exception_fp_ieee_div_zero 0
		.amdhsa_exception_fp_ieee_overflow 0
		.amdhsa_exception_fp_ieee_underflow 0
		.amdhsa_exception_fp_ieee_inexact 0
		.amdhsa_exception_int_div_zero 0
	.end_amdhsa_kernel
	.text
.Lfunc_end0:
	.size	bluestein_single_back_len2916_dim1_dp_op_CI_CI, .Lfunc_end0-bluestein_single_back_len2916_dim1_dp_op_CI_CI
                                        ; -- End function
	.section	.AMDGPU.csdata,"",@progbits
; Kernel info:
; codeLenInByte = 18372
; NumSgprs: 26
; NumVgprs: 256
; ScratchSize: 160
; MemoryBound: 0
; FloatMode: 240
; IeeeMode: 1
; LDSByteSize: 46656 bytes/workgroup (compile time only)
; SGPRBlocks: 3
; VGPRBlocks: 31
; NumSGPRsForWavesPerEU: 26
; NumVGPRsForWavesPerEU: 256
; Occupancy: 4
; WaveLimiterHint : 1
; COMPUTE_PGM_RSRC2:SCRATCH_EN: 1
; COMPUTE_PGM_RSRC2:USER_SGPR: 6
; COMPUTE_PGM_RSRC2:TRAP_HANDLER: 0
; COMPUTE_PGM_RSRC2:TGID_X_EN: 1
; COMPUTE_PGM_RSRC2:TGID_Y_EN: 0
; COMPUTE_PGM_RSRC2:TGID_Z_EN: 0
; COMPUTE_PGM_RSRC2:TIDIG_COMP_CNT: 0
	.text
	.p2alignl 6, 3214868480
	.fill 48, 4, 3214868480
	.type	__hip_cuid_b500868bae325c66,@object ; @__hip_cuid_b500868bae325c66
	.section	.bss,"aw",@nobits
	.globl	__hip_cuid_b500868bae325c66
__hip_cuid_b500868bae325c66:
	.byte	0                               ; 0x0
	.size	__hip_cuid_b500868bae325c66, 1

	.ident	"AMD clang version 19.0.0git (https://github.com/RadeonOpenCompute/llvm-project roc-6.4.0 25133 c7fe45cf4b819c5991fe208aaa96edf142730f1d)"
	.section	".note.GNU-stack","",@progbits
	.addrsig
	.addrsig_sym __hip_cuid_b500868bae325c66
	.amdgpu_metadata
---
amdhsa.kernels:
  - .args:
      - .actual_access:  read_only
        .address_space:  global
        .offset:         0
        .size:           8
        .value_kind:     global_buffer
      - .actual_access:  read_only
        .address_space:  global
        .offset:         8
        .size:           8
        .value_kind:     global_buffer
      - .actual_access:  read_only
        .address_space:  global
        .offset:         16
        .size:           8
        .value_kind:     global_buffer
      - .actual_access:  read_only
        .address_space:  global
        .offset:         24
        .size:           8
        .value_kind:     global_buffer
      - .actual_access:  read_only
        .address_space:  global
        .offset:         32
        .size:           8
        .value_kind:     global_buffer
      - .offset:         40
        .size:           8
        .value_kind:     by_value
      - .address_space:  global
        .offset:         48
        .size:           8
        .value_kind:     global_buffer
      - .address_space:  global
        .offset:         56
        .size:           8
        .value_kind:     global_buffer
      - .address_space:  global
        .offset:         64
        .size:           8
        .value_kind:     global_buffer
      - .address_space:  global
        .offset:         72
        .size:           8
        .value_kind:     global_buffer
      - .offset:         80
        .size:           4
        .value_kind:     by_value
      - .address_space:  global
        .offset:         88
        .size:           8
        .value_kind:     global_buffer
      - .address_space:  global
        .offset:         96
        .size:           8
        .value_kind:     global_buffer
    .group_segment_fixed_size: 46656
    .kernarg_segment_align: 8
    .kernarg_segment_size: 104
    .language:       OpenCL C
    .language_version:
      - 2
      - 0
    .max_flat_workgroup_size: 243
    .name:           bluestein_single_back_len2916_dim1_dp_op_CI_CI
    .private_segment_fixed_size: 160
    .sgpr_count:     26
    .sgpr_spill_count: 0
    .symbol:         bluestein_single_back_len2916_dim1_dp_op_CI_CI.kd
    .uniform_work_group_size: 1
    .uses_dynamic_stack: false
    .vgpr_count:     256
    .vgpr_spill_count: 39
    .wavefront_size: 32
    .workgroup_processor_mode: 1
amdhsa.target:   amdgcn-amd-amdhsa--gfx1030
amdhsa.version:
  - 1
  - 2
...

	.end_amdgpu_metadata
